;; amdgpu-corpus repo=ROCm/rocFFT kind=compiled arch=gfx1201 opt=O3
	.text
	.amdgcn_target "amdgcn-amd-amdhsa--gfx1201"
	.amdhsa_code_object_version 6
	.protected	fft_rtc_fwd_len1020_factors_2_17_2_3_5_wgs_204_tpt_68_halfLds_dp_ip_CI_sbrr_dirReg ; -- Begin function fft_rtc_fwd_len1020_factors_2_17_2_3_5_wgs_204_tpt_68_halfLds_dp_ip_CI_sbrr_dirReg
	.globl	fft_rtc_fwd_len1020_factors_2_17_2_3_5_wgs_204_tpt_68_halfLds_dp_ip_CI_sbrr_dirReg
	.p2align	8
	.type	fft_rtc_fwd_len1020_factors_2_17_2_3_5_wgs_204_tpt_68_halfLds_dp_ip_CI_sbrr_dirReg,@function
fft_rtc_fwd_len1020_factors_2_17_2_3_5_wgs_204_tpt_68_halfLds_dp_ip_CI_sbrr_dirReg: ; @fft_rtc_fwd_len1020_factors_2_17_2_3_5_wgs_204_tpt_68_halfLds_dp_ip_CI_sbrr_dirReg
; %bb.0:
	s_clause 0x1
	s_load_b64 s[12:13], s[0:1], 0x18
	s_load_b128 s[4:7], s[0:1], 0x0
	v_mul_u32_u24_e32 v1, 0x3c4, v0
	v_mov_b32_e32 v3, 0
	s_load_b64 s[10:11], s[0:1], 0x50
	s_wait_kmcnt 0x0
	s_load_b64 s[8:9], s[12:13], 0x0
	v_lshrrev_b32_e32 v1, 16, v1
	v_cmp_lt_u64_e64 s2, s[6:7], 2
	s_delay_alu instid0(VALU_DEP_2) | instskip(SKIP_2) | instid1(VALU_DEP_4)
	v_mad_co_u64_u32 v[98:99], null, ttmp9, 3, v[1:2]
	v_mov_b32_e32 v1, 0
	v_dual_mov_b32 v2, 0 :: v_dual_mov_b32 v99, v3
	s_and_b32 vcc_lo, exec_lo, s2
	s_delay_alu instid0(VALU_DEP_1)
	v_dual_mov_b32 v7, v98 :: v_dual_mov_b32 v8, v99
	s_cbranch_vccnz .LBB0_8
; %bb.1:
	s_load_b64 s[2:3], s[0:1], 0x10
	v_mov_b32_e32 v1, 0
	v_dual_mov_b32 v2, 0 :: v_dual_mov_b32 v5, v98
	v_mov_b32_e32 v6, v99
	s_add_nc_u64 s[14:15], s[12:13], 8
	s_mov_b64 s[16:17], 1
	s_wait_kmcnt 0x0
	s_add_nc_u64 s[18:19], s[2:3], 8
	s_mov_b32 s3, 0
.LBB0_2:                                ; =>This Inner Loop Header: Depth=1
	s_load_b64 s[20:21], s[18:19], 0x0
                                        ; implicit-def: $vgpr7_vgpr8
	s_mov_b32 s2, exec_lo
	s_wait_kmcnt 0x0
	v_or_b32_e32 v4, s21, v6
	s_delay_alu instid0(VALU_DEP_1)
	v_cmpx_ne_u64_e32 0, v[3:4]
	s_wait_alu 0xfffe
	s_xor_b32 s22, exec_lo, s2
	s_cbranch_execz .LBB0_4
; %bb.3:                                ;   in Loop: Header=BB0_2 Depth=1
	s_cvt_f32_u32 s2, s20
	s_cvt_f32_u32 s23, s21
	s_sub_nc_u64 s[26:27], 0, s[20:21]
	s_wait_alu 0xfffe
	s_delay_alu instid0(SALU_CYCLE_1) | instskip(SKIP_1) | instid1(SALU_CYCLE_2)
	s_fmamk_f32 s2, s23, 0x4f800000, s2
	s_wait_alu 0xfffe
	v_s_rcp_f32 s2, s2
	s_delay_alu instid0(TRANS32_DEP_1) | instskip(SKIP_1) | instid1(SALU_CYCLE_2)
	s_mul_f32 s2, s2, 0x5f7ffffc
	s_wait_alu 0xfffe
	s_mul_f32 s23, s2, 0x2f800000
	s_wait_alu 0xfffe
	s_delay_alu instid0(SALU_CYCLE_2) | instskip(SKIP_1) | instid1(SALU_CYCLE_2)
	s_trunc_f32 s23, s23
	s_wait_alu 0xfffe
	s_fmamk_f32 s2, s23, 0xcf800000, s2
	s_cvt_u32_f32 s25, s23
	s_wait_alu 0xfffe
	s_delay_alu instid0(SALU_CYCLE_1) | instskip(SKIP_1) | instid1(SALU_CYCLE_2)
	s_cvt_u32_f32 s24, s2
	s_wait_alu 0xfffe
	s_mul_u64 s[28:29], s[26:27], s[24:25]
	s_wait_alu 0xfffe
	s_mul_hi_u32 s31, s24, s29
	s_mul_i32 s30, s24, s29
	s_mul_hi_u32 s2, s24, s28
	s_mul_i32 s33, s25, s28
	s_wait_alu 0xfffe
	s_add_nc_u64 s[30:31], s[2:3], s[30:31]
	s_mul_hi_u32 s23, s25, s28
	s_mul_hi_u32 s34, s25, s29
	s_add_co_u32 s2, s30, s33
	s_wait_alu 0xfffe
	s_add_co_ci_u32 s2, s31, s23
	s_mul_i32 s28, s25, s29
	s_add_co_ci_u32 s29, s34, 0
	s_wait_alu 0xfffe
	s_add_nc_u64 s[28:29], s[2:3], s[28:29]
	s_wait_alu 0xfffe
	v_add_co_u32 v4, s2, s24, s28
	s_delay_alu instid0(VALU_DEP_1) | instskip(SKIP_1) | instid1(VALU_DEP_1)
	s_cmp_lg_u32 s2, 0
	s_add_co_ci_u32 s25, s25, s29
	v_readfirstlane_b32 s24, v4
	s_wait_alu 0xfffe
	s_delay_alu instid0(VALU_DEP_1)
	s_mul_u64 s[26:27], s[26:27], s[24:25]
	s_wait_alu 0xfffe
	s_mul_hi_u32 s29, s24, s27
	s_mul_i32 s28, s24, s27
	s_mul_hi_u32 s2, s24, s26
	s_mul_i32 s30, s25, s26
	s_wait_alu 0xfffe
	s_add_nc_u64 s[28:29], s[2:3], s[28:29]
	s_mul_hi_u32 s23, s25, s26
	s_mul_hi_u32 s24, s25, s27
	s_wait_alu 0xfffe
	s_add_co_u32 s2, s28, s30
	s_add_co_ci_u32 s2, s29, s23
	s_mul_i32 s26, s25, s27
	s_add_co_ci_u32 s27, s24, 0
	s_wait_alu 0xfffe
	s_add_nc_u64 s[26:27], s[2:3], s[26:27]
	s_wait_alu 0xfffe
	v_add_co_u32 v4, s2, v4, s26
	s_delay_alu instid0(VALU_DEP_1) | instskip(SKIP_1) | instid1(VALU_DEP_1)
	s_cmp_lg_u32 s2, 0
	s_add_co_ci_u32 s2, s25, s27
	v_mul_hi_u32 v13, v5, v4
	s_wait_alu 0xfffe
	v_mad_co_u64_u32 v[7:8], null, v5, s2, 0
	v_mad_co_u64_u32 v[9:10], null, v6, v4, 0
	;; [unrolled: 1-line block ×3, first 2 shown]
	s_delay_alu instid0(VALU_DEP_3) | instskip(SKIP_1) | instid1(VALU_DEP_4)
	v_add_co_u32 v4, vcc_lo, v13, v7
	s_wait_alu 0xfffd
	v_add_co_ci_u32_e32 v7, vcc_lo, 0, v8, vcc_lo
	s_delay_alu instid0(VALU_DEP_2) | instskip(SKIP_1) | instid1(VALU_DEP_2)
	v_add_co_u32 v4, vcc_lo, v4, v9
	s_wait_alu 0xfffd
	v_add_co_ci_u32_e32 v4, vcc_lo, v7, v10, vcc_lo
	s_wait_alu 0xfffd
	v_add_co_ci_u32_e32 v7, vcc_lo, 0, v12, vcc_lo
	s_delay_alu instid0(VALU_DEP_2) | instskip(SKIP_1) | instid1(VALU_DEP_2)
	v_add_co_u32 v4, vcc_lo, v4, v11
	s_wait_alu 0xfffd
	v_add_co_ci_u32_e32 v9, vcc_lo, 0, v7, vcc_lo
	s_delay_alu instid0(VALU_DEP_2) | instskip(SKIP_1) | instid1(VALU_DEP_3)
	v_mul_lo_u32 v10, s21, v4
	v_mad_co_u64_u32 v[7:8], null, s20, v4, 0
	v_mul_lo_u32 v11, s20, v9
	s_delay_alu instid0(VALU_DEP_2) | instskip(NEXT) | instid1(VALU_DEP_2)
	v_sub_co_u32 v7, vcc_lo, v5, v7
	v_add3_u32 v8, v8, v11, v10
	s_delay_alu instid0(VALU_DEP_1) | instskip(SKIP_1) | instid1(VALU_DEP_1)
	v_sub_nc_u32_e32 v10, v6, v8
	s_wait_alu 0xfffd
	v_subrev_co_ci_u32_e64 v10, s2, s21, v10, vcc_lo
	v_add_co_u32 v11, s2, v4, 2
	s_wait_alu 0xf1ff
	v_add_co_ci_u32_e64 v12, s2, 0, v9, s2
	v_sub_co_u32 v13, s2, v7, s20
	v_sub_co_ci_u32_e32 v8, vcc_lo, v6, v8, vcc_lo
	s_wait_alu 0xf1ff
	v_subrev_co_ci_u32_e64 v10, s2, 0, v10, s2
	s_delay_alu instid0(VALU_DEP_3) | instskip(NEXT) | instid1(VALU_DEP_3)
	v_cmp_le_u32_e32 vcc_lo, s20, v13
	v_cmp_eq_u32_e64 s2, s21, v8
	s_wait_alu 0xfffd
	v_cndmask_b32_e64 v13, 0, -1, vcc_lo
	v_cmp_le_u32_e32 vcc_lo, s21, v10
	s_wait_alu 0xfffd
	v_cndmask_b32_e64 v14, 0, -1, vcc_lo
	v_cmp_le_u32_e32 vcc_lo, s20, v7
	;; [unrolled: 3-line block ×3, first 2 shown]
	s_wait_alu 0xfffd
	v_cndmask_b32_e64 v15, 0, -1, vcc_lo
	v_cmp_eq_u32_e32 vcc_lo, s21, v10
	s_wait_alu 0xf1ff
	s_delay_alu instid0(VALU_DEP_2)
	v_cndmask_b32_e64 v7, v15, v7, s2
	s_wait_alu 0xfffd
	v_cndmask_b32_e32 v10, v14, v13, vcc_lo
	v_add_co_u32 v13, vcc_lo, v4, 1
	s_wait_alu 0xfffd
	v_add_co_ci_u32_e32 v14, vcc_lo, 0, v9, vcc_lo
	s_delay_alu instid0(VALU_DEP_3) | instskip(SKIP_2) | instid1(VALU_DEP_3)
	v_cmp_ne_u32_e32 vcc_lo, 0, v10
	s_wait_alu 0xfffd
	v_cndmask_b32_e32 v10, v13, v11, vcc_lo
	v_cndmask_b32_e32 v8, v14, v12, vcc_lo
	v_cmp_ne_u32_e32 vcc_lo, 0, v7
	s_wait_alu 0xfffd
	s_delay_alu instid0(VALU_DEP_2)
	v_dual_cndmask_b32 v7, v4, v10 :: v_dual_cndmask_b32 v8, v9, v8
.LBB0_4:                                ;   in Loop: Header=BB0_2 Depth=1
	s_wait_alu 0xfffe
	s_and_not1_saveexec_b32 s2, s22
	s_cbranch_execz .LBB0_6
; %bb.5:                                ;   in Loop: Header=BB0_2 Depth=1
	v_cvt_f32_u32_e32 v4, s20
	s_sub_co_i32 s22, 0, s20
	s_delay_alu instid0(VALU_DEP_1) | instskip(NEXT) | instid1(TRANS32_DEP_1)
	v_rcp_iflag_f32_e32 v4, v4
	v_mul_f32_e32 v4, 0x4f7ffffe, v4
	s_delay_alu instid0(VALU_DEP_1) | instskip(SKIP_1) | instid1(VALU_DEP_1)
	v_cvt_u32_f32_e32 v4, v4
	s_wait_alu 0xfffe
	v_mul_lo_u32 v7, s22, v4
	s_delay_alu instid0(VALU_DEP_1) | instskip(NEXT) | instid1(VALU_DEP_1)
	v_mul_hi_u32 v7, v4, v7
	v_add_nc_u32_e32 v4, v4, v7
	s_delay_alu instid0(VALU_DEP_1) | instskip(NEXT) | instid1(VALU_DEP_1)
	v_mul_hi_u32 v4, v5, v4
	v_mul_lo_u32 v7, v4, s20
	v_add_nc_u32_e32 v8, 1, v4
	s_delay_alu instid0(VALU_DEP_2) | instskip(NEXT) | instid1(VALU_DEP_1)
	v_sub_nc_u32_e32 v7, v5, v7
	v_subrev_nc_u32_e32 v9, s20, v7
	v_cmp_le_u32_e32 vcc_lo, s20, v7
	s_wait_alu 0xfffd
	s_delay_alu instid0(VALU_DEP_2) | instskip(NEXT) | instid1(VALU_DEP_1)
	v_dual_cndmask_b32 v7, v7, v9 :: v_dual_cndmask_b32 v4, v4, v8
	v_cmp_le_u32_e32 vcc_lo, s20, v7
	s_delay_alu instid0(VALU_DEP_2) | instskip(SKIP_1) | instid1(VALU_DEP_1)
	v_add_nc_u32_e32 v8, 1, v4
	s_wait_alu 0xfffd
	v_dual_cndmask_b32 v7, v4, v8 :: v_dual_mov_b32 v8, v3
.LBB0_6:                                ;   in Loop: Header=BB0_2 Depth=1
	s_wait_alu 0xfffe
	s_or_b32 exec_lo, exec_lo, s2
	s_load_b64 s[22:23], s[14:15], 0x0
	s_delay_alu instid0(VALU_DEP_1)
	v_mul_lo_u32 v4, v8, s20
	v_mul_lo_u32 v11, v7, s21
	v_mad_co_u64_u32 v[9:10], null, v7, s20, 0
	s_add_nc_u64 s[16:17], s[16:17], 1
	s_add_nc_u64 s[14:15], s[14:15], 8
	s_wait_alu 0xfffe
	v_cmp_ge_u64_e64 s2, s[16:17], s[6:7]
	s_add_nc_u64 s[18:19], s[18:19], 8
	s_delay_alu instid0(VALU_DEP_2) | instskip(NEXT) | instid1(VALU_DEP_3)
	v_add3_u32 v4, v10, v11, v4
	v_sub_co_u32 v5, vcc_lo, v5, v9
	s_wait_alu 0xfffd
	s_delay_alu instid0(VALU_DEP_2) | instskip(SKIP_3) | instid1(VALU_DEP_2)
	v_sub_co_ci_u32_e32 v4, vcc_lo, v6, v4, vcc_lo
	s_and_b32 vcc_lo, exec_lo, s2
	s_wait_kmcnt 0x0
	v_mul_lo_u32 v6, s23, v5
	v_mul_lo_u32 v4, s22, v4
	v_mad_co_u64_u32 v[1:2], null, s22, v5, v[1:2]
	s_delay_alu instid0(VALU_DEP_1)
	v_add3_u32 v2, v6, v2, v4
	s_wait_alu 0xfffe
	s_cbranch_vccnz .LBB0_8
; %bb.7:                                ;   in Loop: Header=BB0_2 Depth=1
	v_dual_mov_b32 v5, v7 :: v_dual_mov_b32 v6, v8
	s_branch .LBB0_2
.LBB0_8:
	s_lshl_b64 s[2:3], s[6:7], 3
	v_mul_hi_u32 v3, 0x3c3c3c4, v0
	s_wait_alu 0xfffe
	s_add_nc_u64 s[2:3], s[12:13], s[2:3]
	s_load_b64 s[0:1], s[0:1], 0x20
	s_load_b64 s[2:3], s[2:3], 0x0
                                        ; implicit-def: $vgpr143
                                        ; implicit-def: $vgpr145
                                        ; implicit-def: $vgpr147
                                        ; implicit-def: $vgpr149
	s_delay_alu instid0(VALU_DEP_1) | instskip(NEXT) | instid1(VALU_DEP_1)
	v_mul_u32_u24_e32 v3, 0x44, v3
	v_sub_nc_u32_e32 v140, v0, v3
	s_delay_alu instid0(VALU_DEP_1)
	v_add_nc_u32_e32 v138, 0x44, v140
	v_add_nc_u32_e32 v139, 0x88, v140
	;; [unrolled: 1-line block ×4, first 2 shown]
	s_wait_kmcnt 0x0
	v_cmp_gt_u64_e32 vcc_lo, s[0:1], v[7:8]
	v_mul_lo_u32 v3, s2, v8
	v_mul_lo_u32 v4, s3, v7
	v_mad_co_u64_u32 v[0:1], null, s2, v7, v[1:2]
	v_cmp_le_u64_e64 s0, s[0:1], v[7:8]
	v_add_nc_u32_e32 v146, 0x154, v140
	v_add_nc_u32_e32 v142, 0x198, v140
	s_delay_alu instid0(VALU_DEP_4) | instskip(NEXT) | instid1(VALU_DEP_4)
	v_add3_u32 v1, v4, v1, v3
	s_and_saveexec_b32 s1, s0
	s_wait_alu 0xfffe
	s_xor_b32 s0, exec_lo, s1
; %bb.9:
	v_add_nc_u32_e32 v143, 0x44, v140
	v_add_nc_u32_e32 v145, 0x88, v140
	;; [unrolled: 1-line block ×6, first 2 shown]
; %bb.10:
	s_wait_alu 0xfffe
	s_or_saveexec_b32 s1, s0
	v_lshlrev_b64_e32 v[96:97], 4, v[0:1]
                                        ; implicit-def: $vgpr94_vgpr95
                                        ; implicit-def: $vgpr90_vgpr91
                                        ; implicit-def: $vgpr78_vgpr79
                                        ; implicit-def: $vgpr66_vgpr67
                                        ; implicit-def: $vgpr82_vgpr83
                                        ; implicit-def: $vgpr70_vgpr71
                                        ; implicit-def: $vgpr86_vgpr87
                                        ; implicit-def: $vgpr74_vgpr75
                                        ; implicit-def: $vgpr62_vgpr63
                                        ; implicit-def: $vgpr58_vgpr59
                                        ; implicit-def: $vgpr50_vgpr51
                                        ; implicit-def: $vgpr42_vgpr43
                                        ; implicit-def: $vgpr54_vgpr55
                                        ; implicit-def: $vgpr46_vgpr47
                                        ; implicit-def: $vgpr2_vgpr3
                                        ; implicit-def: $vgpr34_vgpr35
	s_wait_alu 0xfffe
	s_xor_b32 exec_lo, exec_lo, s1
	s_cbranch_execz .LBB0_14
; %bb.11:
	v_add_nc_u32_e32 v4, 0x1fe, v140
	v_mad_co_u64_u32 v[0:1], null, s8, v140, 0
	v_add_nc_u32_e32 v13, 0x242, v140
	v_mad_co_u64_u32 v[6:7], null, s8, v138, 0
	s_delay_alu instid0(VALU_DEP_4) | instskip(SKIP_4) | instid1(VALU_DEP_4)
	v_mad_co_u64_u32 v[2:3], null, s8, v4, 0
	v_mad_co_u64_u32 v[11:12], null, s8, v139, 0
	v_add_nc_u32_e32 v18, 0x286, v140
	v_add_nc_u32_e32 v22, 0x2ca, v140
	s_mov_b32 s2, exec_lo
                                        ; implicit-def: $vgpr88_vgpr89
                                        ; implicit-def: $vgpr92_vgpr93
	v_mad_co_u64_u32 v[8:9], null, s9, v140, v[1:2]
	v_mad_co_u64_u32 v[9:10], null, s8, v13, 0
	s_delay_alu instid0(VALU_DEP_2) | instskip(SKIP_1) | instid1(VALU_DEP_3)
	v_mov_b32_e32 v1, v8
	v_mad_co_u64_u32 v[7:8], null, s9, v138, v[7:8]
	v_mov_b32_e32 v8, v10
	v_mad_co_u64_u32 v[3:4], null, s9, v4, v[3:4]
	s_delay_alu instid0(VALU_DEP_4) | instskip(SKIP_1) | instid1(VALU_DEP_4)
	v_lshlrev_b64_e32 v[0:1], 4, v[0:1]
	v_add_co_u32 v4, s0, s10, v96
	v_mad_co_u64_u32 v[13:14], null, s9, v13, v[8:9]
	v_mad_co_u64_u32 v[14:15], null, s8, v18, 0
	v_mov_b32_e32 v8, v12
	s_wait_alu 0xf1ff
	v_add_co_ci_u32_e64 v5, s0, s11, v97, s0
	v_lshlrev_b64_e32 v[2:3], 4, v[2:3]
	v_mov_b32_e32 v10, v13
	v_mad_co_u64_u32 v[16:17], null, s9, v139, v[8:9]
	v_mov_b32_e32 v8, v15
	v_add_co_u32 v0, s0, v4, v0
	s_delay_alu instid0(VALU_DEP_4)
	v_lshlrev_b64_e32 v[9:10], 4, v[9:10]
	v_lshlrev_b64_e32 v[6:7], 4, v[6:7]
	s_wait_alu 0xf1ff
	v_add_co_ci_u32_e64 v1, s0, v5, v1, s0
	v_add_co_u32 v2, s0, v4, v2
	v_mov_b32_e32 v12, v16
	v_mad_co_u64_u32 v[15:16], null, s9, v18, v[8:9]
	v_mad_co_u64_u32 v[16:17], null, s8, v141, 0
	s_wait_alu 0xf1ff
	v_add_co_ci_u32_e64 v3, s0, v5, v3, s0
	v_add_co_u32 v6, s0, v4, v6
	s_wait_alu 0xf1ff
	v_add_co_ci_u32_e64 v7, s0, v5, v7, s0
	v_add_co_u32 v8, s0, v4, v9
	s_wait_alu 0xf1ff
	v_add_co_ci_u32_e64 v9, s0, v5, v10, s0
	v_lshlrev_b64_e32 v[10:11], 4, v[11:12]
	v_lshlrev_b64_e32 v[13:14], 4, v[14:15]
	v_mov_b32_e32 v12, v17
	v_mad_co_u64_u32 v[18:19], null, s8, v22, 0
	s_clause 0x1
	global_load_b128 v[32:35], v[0:1], off
	global_load_b128 v[0:3], v[2:3], off
	v_add_co_u32 v10, s0, v4, v10
	v_mad_co_u64_u32 v[20:21], null, s9, v141, v[12:13]
	s_wait_alu 0xf1ff
	v_add_co_ci_u32_e64 v11, s0, v5, v11, s0
	v_mov_b32_e32 v12, v19
	v_add_co_u32 v13, s0, v4, v13
	s_wait_alu 0xf1ff
	v_add_co_ci_u32_e64 v14, s0, v5, v14, s0
	v_mov_b32_e32 v17, v20
	s_delay_alu instid0(VALU_DEP_3)
	v_mad_co_u64_u32 v[19:20], null, s9, v22, v[12:13]
	v_mad_co_u64_u32 v[20:21], null, s8, v144, 0
	v_add_nc_u32_e32 v22, 0x30e, v140
	s_clause 0x3
	global_load_b128 v[44:47], v[6:7], off
	global_load_b128 v[52:55], v[8:9], off
	;; [unrolled: 1-line block ×4, first 2 shown]
	v_lshlrev_b64_e32 v[6:7], 4, v[16:17]
	v_lshlrev_b64_e32 v[11:12], 4, v[18:19]
	v_mad_co_u64_u32 v[9:10], null, s8, v22, 0
	v_mov_b32_e32 v8, v21
	s_delay_alu instid0(VALU_DEP_4)
	v_add_co_u32 v6, s0, v4, v6
	v_add_nc_u32_e32 v18, 0x352, v140
	s_wait_alu 0xf1ff
	v_add_co_ci_u32_e64 v7, s0, v5, v7, s0
	v_mad_co_u64_u32 v[13:14], null, s9, v144, v[8:9]
	v_mov_b32_e32 v8, v10
	v_mad_co_u64_u32 v[14:15], null, s8, v146, 0
	v_add_co_u32 v10, s0, v4, v11
	s_wait_alu 0xf1ff
	v_add_co_ci_u32_e64 v11, s0, v5, v12, s0
	v_mad_co_u64_u32 v[16:17], null, s9, v22, v[8:9]
	v_mov_b32_e32 v21, v13
	v_mad_co_u64_u32 v[12:13], null, s8, v18, 0
	v_mov_b32_e32 v8, v15
	s_clause 0x1
	global_load_b128 v[56:59], v[6:7], off
	global_load_b128 v[60:63], v[10:11], off
	v_dual_mov_b32 v10, v16 :: v_dual_add_nc_u32 v11, 0x396, v140
	v_lshlrev_b64_e32 v[6:7], 4, v[20:21]
	v_mad_co_u64_u32 v[15:16], null, s9, v146, v[8:9]
	v_mov_b32_e32 v8, v13
	v_mad_co_u64_u32 v[16:17], null, s8, v142, 0
	s_delay_alu instid0(VALU_DEP_4) | instskip(NEXT) | instid1(VALU_DEP_3)
	v_add_co_u32 v6, s0, v4, v6
	v_mad_co_u64_u32 v[18:19], null, s9, v18, v[8:9]
	v_mad_co_u64_u32 v[19:20], null, s8, v11, 0
	v_lshlrev_b64_e32 v[9:10], 4, v[9:10]
	v_mov_b32_e32 v8, v17
	s_wait_alu 0xf1ff
	v_add_co_ci_u32_e64 v7, s0, v5, v7, s0
	v_mov_b32_e32 v13, v18
	v_lshlrev_b64_e32 v[14:15], 4, v[14:15]
	v_mad_co_u64_u32 v[17:18], null, s9, v142, v[8:9]
	v_mov_b32_e32 v8, v20
	v_add_co_u32 v9, s0, v4, v9
	s_wait_alu 0xf1ff
	v_add_co_ci_u32_e64 v10, s0, v5, v10, s0
	s_delay_alu instid0(VALU_DEP_2)
	v_mad_co_u64_u32 v[20:21], null, s9, v11, v[8:9]
	v_lshlrev_b64_e32 v[11:12], 4, v[12:13]
	v_add_co_u32 v13, s0, v4, v14
	s_wait_alu 0xf1ff
	v_add_co_ci_u32_e64 v14, s0, v5, v15, s0
	v_lshlrev_b64_e32 v[15:16], 4, v[16:17]
	s_delay_alu instid0(VALU_DEP_4) | instskip(SKIP_3) | instid1(VALU_DEP_4)
	v_add_co_u32 v11, s0, v4, v11
	v_lshlrev_b64_e32 v[17:18], 4, v[19:20]
	s_wait_alu 0xf1ff
	v_add_co_ci_u32_e64 v12, s0, v5, v12, s0
	v_add_co_u32 v15, s0, v4, v15
	s_wait_alu 0xf1ff
	v_add_co_ci_u32_e64 v16, s0, v5, v16, s0
	v_add_co_u32 v17, s0, v4, v17
	s_wait_alu 0xf1ff
	v_add_co_ci_u32_e64 v18, s0, v5, v18, s0
	s_clause 0x5
	global_load_b128 v[72:75], v[6:7], off
	global_load_b128 v[84:87], v[9:10], off
	;; [unrolled: 1-line block ×6, first 2 shown]
	v_cmpx_gt_u32_e32 34, v140
	s_cbranch_execz .LBB0_13
; %bb.12:
	v_add_nc_u32_e32 v10, 0x1dc, v140
	v_add_nc_u32_e32 v12, 0x3da, v140
	s_delay_alu instid0(VALU_DEP_2) | instskip(NEXT) | instid1(VALU_DEP_2)
	v_mad_co_u64_u32 v[6:7], null, s8, v10, 0
	v_mad_co_u64_u32 v[8:9], null, s8, v12, 0
	s_delay_alu instid0(VALU_DEP_1) | instskip(NEXT) | instid1(VALU_DEP_1)
	v_mad_co_u64_u32 v[10:11], null, s9, v10, v[7:8]
	v_mov_b32_e32 v7, v10
	s_delay_alu instid0(VALU_DEP_3) | instskip(NEXT) | instid1(VALU_DEP_2)
	v_mad_co_u64_u32 v[11:12], null, s9, v12, v[9:10]
	v_lshlrev_b64_e32 v[6:7], 4, v[6:7]
	s_delay_alu instid0(VALU_DEP_2) | instskip(NEXT) | instid1(VALU_DEP_2)
	v_mov_b32_e32 v9, v11
	v_add_co_u32 v6, s0, v4, v6
	s_wait_alu 0xf1ff
	s_delay_alu instid0(VALU_DEP_3) | instskip(NEXT) | instid1(VALU_DEP_3)
	v_add_co_ci_u32_e64 v7, s0, v5, v7, s0
	v_lshlrev_b64_e32 v[8:9], 4, v[8:9]
	s_delay_alu instid0(VALU_DEP_1) | instskip(SKIP_1) | instid1(VALU_DEP_2)
	v_add_co_u32 v4, s0, v4, v8
	s_wait_alu 0xf1ff
	v_add_co_ci_u32_e64 v5, s0, v5, v9, s0
	s_clause 0x1
	global_load_b128 v[88:91], v[6:7], off
	global_load_b128 v[92:95], v[4:5], off
.LBB0_13:
	s_wait_alu 0xfffe
	s_or_b32 exec_lo, exec_lo, s2
	v_mov_b32_e32 v149, v142
	v_mov_b32_e32 v147, v141
	;; [unrolled: 1-line block ×4, first 2 shown]
.LBB0_14:
	s_or_b32 exec_lo, exec_lo, s1
	s_wait_loadcnt 0xc
	v_add_f64_e64 v[6:7], v[32:33], -v[0:1]
	s_wait_loadcnt 0xa
	v_add_f64_e64 v[26:27], v[44:45], -v[52:53]
	;; [unrolled: 2-line block ×7, first 2 shown]
	v_add_f64_e64 v[38:39], v[88:89], -v[92:93]
	v_mul_hi_u32 v0, 0xaaaaaaab, v98
	v_lshlrev_b32_e32 v1, 4, v140
	v_add_nc_u32_e32 v150, 0x1dc, v140
	v_cmp_gt_u32_e64 s0, 34, v140
	s_delay_alu instid0(VALU_DEP_4) | instskip(NEXT) | instid1(VALU_DEP_1)
	v_lshrrev_b32_e32 v0, 1, v0
	v_lshl_add_u32 v0, v0, 1, v0
	s_delay_alu instid0(VALU_DEP_1) | instskip(NEXT) | instid1(VALU_DEP_1)
	v_sub_nc_u32_e32 v0, v98, v0
	v_mul_u32_u24_e32 v0, 0x3fc, v0
	s_delay_alu instid0(VALU_DEP_1)
	v_lshlrev_b32_e32 v148, 3, v0
	v_lshlrev_b32_e32 v0, 4, v144
	v_fma_f64 v[4:5], v[32:33], 2.0, -v[6:7]
	v_fma_f64 v[24:25], v[44:45], 2.0, -v[26:27]
	v_fma_f64 v[16:17], v[40:41], 2.0, -v[18:19]
	v_fma_f64 v[8:9], v[56:57], 2.0, -v[10:11]
	v_fma_f64 v[12:13], v[72:73], 2.0, -v[14:15]
	v_fma_f64 v[20:21], v[68:69], 2.0, -v[22:23]
	v_fma_f64 v[28:29], v[64:65], 2.0, -v[30:31]
	v_fma_f64 v[36:37], v[88:89], 2.0, -v[38:39]
	v_lshlrev_b32_e32 v32, 4, v143
	v_lshlrev_b32_e32 v33, 4, v145
	;; [unrolled: 1-line block ×6, first 2 shown]
	v_add3_u32 v81, 0, v1, v148
	v_add3_u32 v80, 0, v32, v148
	;; [unrolled: 1-line block ×7, first 2 shown]
	ds_store_b128 v81, v[4:7]
	ds_store_b128 v80, v[24:27]
	;; [unrolled: 1-line block ×7, first 2 shown]
	s_and_saveexec_b32 s1, s0
	s_cbranch_execz .LBB0_16
; %bb.15:
	v_add3_u32 v0, 0, v40, v148
	ds_store_b128 v0, v[36:39]
.LBB0_16:
	s_wait_alu 0xfffe
	s_or_b32 exec_lo, exec_lo, s1
	v_cmp_gt_u32_e64 s1, 60, v140
	v_lshlrev_b32_e32 v152, 3, v140
	global_wb scope:SCOPE_SE
	s_wait_dscnt 0x0
	s_barrier_signal -1
	s_barrier_wait -1
	global_inv scope:SCOPE_SE
                                        ; implicit-def: $vgpr32_vgpr33
	s_and_saveexec_b32 s2, s1
	s_cbranch_execz .LBB0_18
; %bb.17:
	v_add3_u32 v0, 0, v152, v148
	ds_load_2addr_b64 v[6:9], v0 offset0:180 offset1:240
	v_add_nc_u32_e32 v1, 0x1800, v0
	s_wait_dscnt 0x0
	v_dual_mov_b32 v17, v9 :: v_dual_add_nc_u32 v4, 0x1000, v0
	v_mov_b32_e32 v16, v8
	ds_load_2addr_b64 v[98:101], v0 offset0:60 offset1:120
	ds_load_2addr_b64 v[30:33], v1 offset0:132 offset1:192
	;; [unrolled: 1-line block ×3, first 2 shown]
	v_dual_mov_b32 v27, v7 :: v_dual_add_nc_u32 v0, 0x800, v0
	ds_load_2addr_b64 v[18:21], v4 offset0:148 offset1:208
	ds_load_2addr_b64 v[102:105], v4 offset0:28 offset1:88
	;; [unrolled: 1-line block ×4, first 2 shown]
	v_add3_u32 v0, 0, v148, v152
	v_mov_b32_e32 v26, v6
	ds_load_b64 v[4:5], v0
	s_wait_dscnt 0x6
	v_dual_mov_b32 v24, v100 :: v_dual_mov_b32 v39, v31
	s_wait_dscnt 0x5
	v_dual_mov_b32 v38, v30 :: v_dual_mov_b32 v37, v13
	v_dual_mov_b32 v36, v12 :: v_dual_mov_b32 v31, v11
	s_wait_dscnt 0x4
	v_dual_mov_b32 v30, v10 :: v_dual_mov_b32 v29, v21
	v_dual_mov_b32 v28, v20 :: v_dual_mov_b32 v23, v19
	v_mov_b32_e32 v22, v18
	s_wait_dscnt 0x3
	v_mov_b32_e32 v20, v104
	v_mov_b32_e32 v14, v102
	s_wait_dscnt 0x2
	v_mov_b32_e32 v12, v108
	;; [unrolled: 3-line block ×3, first 2 shown]
	v_mov_b32_e32 v18, v110
	v_dual_mov_b32 v6, v98 :: v_dual_mov_b32 v7, v99
	v_mov_b32_e32 v25, v101
	v_mov_b32_e32 v21, v105
	;; [unrolled: 1-line block ×7, first 2 shown]
.LBB0_18:
	s_wait_alu 0xfffe
	s_or_b32 exec_lo, exec_lo, s2
	v_add_f64_e64 v[2:3], v[34:35], -v[2:3]
	v_add_f64_e64 v[64:65], v[46:47], -v[54:55]
	;; [unrolled: 1-line block ×8, first 2 shown]
	global_wb scope:SCOPE_SE
	s_wait_dscnt 0x0
	s_barrier_signal -1
	s_barrier_wait -1
	global_inv scope:SCOPE_SE
	v_fma_f64 v[0:1], v[34:35], 2.0, -v[2:3]
	v_fma_f64 v[62:63], v[46:47], 2.0, -v[64:65]
	;; [unrolled: 1-line block ×8, first 2 shown]
	ds_store_b128 v81, v[0:3]
	ds_store_b128 v80, v[62:65]
	;; [unrolled: 1-line block ×7, first 2 shown]
	s_and_saveexec_b32 s2, s0
	s_cbranch_execz .LBB0_20
; %bb.19:
	v_add3_u32 v34, 0, v40, v148
	ds_store_b128 v34, v[66:69]
.LBB0_20:
	s_wait_alu 0xfffe
	s_or_b32 exec_lo, exec_lo, s2
	global_wb scope:SCOPE_SE
	s_wait_dscnt 0x0
	s_barrier_signal -1
	s_barrier_wait -1
	global_inv scope:SCOPE_SE
                                        ; implicit-def: $vgpr70_vgpr71
	s_and_saveexec_b32 s2, s1
	s_cbranch_execz .LBB0_22
; %bb.21:
	v_add3_u32 v0, 0, v152, v148
	ds_load_2addr_b64 v[40:43], v0 offset0:180 offset1:240
	v_add_nc_u32_e32 v1, 0x1800, v0
	s_wait_dscnt 0x0
	v_dual_mov_b32 v55, v43 :: v_dual_add_nc_u32 v2, 0x1000, v0
	v_mov_b32_e32 v54, v42
	ds_load_2addr_b64 v[72:75], v0 offset0:60 offset1:120
	ds_load_2addr_b64 v[68:71], v1 offset0:132 offset1:192
	;; [unrolled: 1-line block ×3, first 2 shown]
	v_dual_mov_b32 v65, v41 :: v_dual_add_nc_u32 v0, 0x800, v0
	ds_load_2addr_b64 v[48:51], v2 offset0:148 offset1:208
	ds_load_2addr_b64 v[76:79], v2 offset0:28 offset1:88
	;; [unrolled: 1-line block ×4, first 2 shown]
	v_add3_u32 v0, 0, v148, v152
	v_mov_b32_e32 v64, v40
	ds_load_b64 v[0:1], v0
	s_wait_dscnt 0x7
	v_mov_b32_e32 v62, v74
	s_wait_dscnt 0x5
	v_dual_mov_b32 v2, v72 :: v_dual_mov_b32 v67, v47
	v_dual_mov_b32 v66, v46 :: v_dual_mov_b32 v61, v45
	s_wait_dscnt 0x4
	v_dual_mov_b32 v60, v44 :: v_dual_mov_b32 v59, v51
	v_dual_mov_b32 v58, v50 :: v_dual_mov_b32 v53, v49
	v_mov_b32_e32 v52, v48
	s_wait_dscnt 0x3
	v_mov_b32_e32 v50, v78
	v_mov_b32_e32 v44, v76
	s_wait_dscnt 0x2
	v_mov_b32_e32 v42, v82
	;; [unrolled: 3-line block ×3, first 2 shown]
	v_dual_mov_b32 v56, v84 :: v_dual_mov_b32 v3, v73
	v_mov_b32_e32 v63, v75
	v_mov_b32_e32 v51, v79
	;; [unrolled: 1-line block ×7, first 2 shown]
.LBB0_22:
	s_wait_alu 0xfffe
	s_or_b32 exec_lo, exec_lo, s2
	v_and_b32_e32 v151, 1, v140
	s_mov_b32 s18, 0x2a9d6da3
	s_mov_b32 s26, 0x7c9e640b
	;; [unrolled: 1-line block ×4, first 2 shown]
	v_lshlrev_b32_e32 v34, 8, v151
	s_mov_b32 s2, 0x75d4884
	s_mov_b32 s28, 0xeb564b22
	;; [unrolled: 1-line block ×4, first 2 shown]
	s_clause 0xf
	global_load_b128 v[72:75], v34, s[4:5] offset:240
	global_load_b128 v[76:79], v34, s[4:5]
	global_load_b128 v[82:85], v34, s[4:5] offset:16
	global_load_b128 v[86:89], v34, s[4:5] offset:224
	global_load_b128 v[90:93], v34, s[4:5] offset:32
	global_load_b128 v[98:101], v34, s[4:5] offset:208
	global_load_b128 v[102:105], v34, s[4:5] offset:48
	global_load_b128 v[106:109], v34, s[4:5] offset:192
	global_load_b128 v[110:113], v34, s[4:5] offset:64
	global_load_b128 v[153:156], v34, s[4:5] offset:176
	global_load_b128 v[157:160], v34, s[4:5] offset:80
	global_load_b128 v[161:164], v34, s[4:5] offset:160
	global_load_b128 v[165:168], v34, s[4:5] offset:96
	global_load_b128 v[169:172], v34, s[4:5] offset:144
	global_load_b128 v[173:176], v34, s[4:5] offset:112
	global_load_b128 v[177:180], v34, s[4:5] offset:128
	s_mov_b32 s3, 0x3fe7a5f6
	s_mov_b32 s29, 0xbfefdd0d
	;; [unrolled: 1-line block ×27, first 2 shown]
	s_wait_alu 0xfffe
	s_mov_b32 s38, s26
	s_mov_b32 s49, 0x3fd71e95
	;; [unrolled: 1-line block ×5, first 2 shown]
	global_wb scope:SCOPE_SE
	s_wait_loadcnt_dscnt 0x0
	s_barrier_signal -1
	s_barrier_wait -1
	global_inv scope:SCOPE_SE
	v_mul_f64_e32 v[34:35], v[32:33], v[74:75]
	v_mul_f64_e32 v[40:41], v[6:7], v[78:79]
	;; [unrolled: 1-line block ×8, first 2 shown]
	v_fma_f64 v[34:35], v[70:71], v[72:73], v[34:35]
	v_fma_f64 v[40:41], v[2:3], v[76:77], v[40:41]
	v_mul_f64_e32 v[2:3], v[62:63], v[84:85]
	v_mul_f64_e32 v[84:85], v[26:27], v[92:93]
	v_fma_f64 v[62:63], v[62:63], v[82:83], v[80:81]
	v_fma_f64 v[70:71], v[32:33], v[72:73], -v[74:75]
	v_fma_f64 v[32:33], v[68:69], v[86:87], v[94:95]
	v_fma_f64 v[68:69], v[6:7], v[76:77], -v[78:79]
	v_mul_f64_e32 v[6:7], v[64:65], v[92:93]
	v_mul_f64_e32 v[72:73], v[16:17], v[104:105]
	;; [unrolled: 1-line block ×4, first 2 shown]
	v_fma_f64 v[92:93], v[38:39], v[86:87], -v[114:115]
	v_mul_f64_e32 v[86:87], v[58:59], v[155:156]
	v_add_f64_e64 v[80:81], v[40:41], -v[34:35]
	v_fma_f64 v[88:89], v[24:25], v[82:83], -v[2:3]
	v_fma_f64 v[64:65], v[64:65], v[90:91], v[84:85]
	v_fma_f64 v[24:25], v[66:67], v[98:99], v[116:117]
	v_mul_f64_e32 v[2:3], v[54:55], v[104:105]
	v_add_f64_e64 v[130:131], v[62:63], -v[32:33]
	v_add_f64_e32 v[116:117], v[68:69], v[70:71]
	v_mul_f64_e32 v[66:67], v[18:19], v[112:113]
	v_mul_f64_e32 v[82:83], v[28:29], v[155:156]
	;; [unrolled: 1-line block ×3, first 2 shown]
	v_fma_f64 v[76:77], v[26:27], v[90:91], -v[6:7]
	v_fma_f64 v[38:39], v[54:55], v[102:103], v[72:73]
	v_fma_f64 v[54:55], v[36:37], v[98:99], -v[78:79]
	v_fma_f64 v[26:27], v[60:61], v[106:107], v[74:75]
	v_mul_f64_e32 v[72:73], v[56:57], v[112:113]
	v_mul_f64_e32 v[74:75], v[8:9], v[159:160]
	v_mul_f64_e32 v[78:79], v[22:23], v[163:164]
	v_mul_f64_e32 v[122:123], s[18:19], v[80:81]
	v_mul_f64_e32 v[128:129], s[26:27], v[80:81]
	v_add_f64_e32 v[124:125], v[88:89], v[92:93]
	v_add_f64_e64 v[136:137], v[64:65], -v[24:25]
	v_fma_f64 v[90:91], v[16:17], v[102:103], -v[2:3]
	v_mul_f64_e32 v[132:133], s[28:29], v[130:131]
	v_mul_f64_e32 v[134:135], s[16:17], v[130:131]
	v_fma_f64 v[36:37], v[56:57], v[110:111], v[66:67]
	v_fma_f64 v[16:17], v[58:59], v[153:154], v[82:83]
	v_fma_f64 v[56:57], v[30:31], v[106:107], -v[84:85]
	v_mul_f64_e32 v[66:67], v[10:11], v[167:168]
	v_mul_f64_e32 v[82:83], v[20:21], v[171:172]
	v_add_f64_e32 v[108:109], v[76:77], v[54:55]
	v_add_f64_e64 v[126:127], v[38:39], -v[26:27]
	v_mul_f64_e32 v[84:85], v[52:53], v[163:164]
	v_fma_f64 v[94:95], v[18:19], v[110:111], -v[72:73]
	v_fma_f64 v[18:19], v[52:53], v[161:162], v[78:79]
	v_fma_f64 v[52:53], v[28:29], v[153:154], -v[86:87]
	v_mul_f64_e32 v[102:103], v[14:15], v[179:180]
	v_mul_f64_e32 v[106:107], v[50:51], v[171:172]
	v_fma_f64 v[6:7], v[116:117], s[2:3], v[122:123]
	v_fma_f64 v[60:61], v[116:117], s[6:7], v[128:129]
	v_mul_f64_e32 v[118:119], s[16:17], v[136:137]
	v_mul_f64_e32 v[120:121], s[22:23], v[136:137]
	v_fma_f64 v[2:3], v[124:125], s[12:13], v[132:133]
	v_fma_f64 v[30:31], v[124:125], s[14:15], v[134:135]
	s_mov_b32 s23, 0xbfc7851a
	v_add_f64_e64 v[112:113], v[36:37], -v[16:17]
	v_fma_f64 v[28:29], v[50:51], v[169:170], v[82:83]
	v_mul_f64_e32 v[114:115], s[44:45], v[126:127]
	s_wait_alu 0xfffe
	v_mul_f64_e32 v[110:111], s[22:23], v[126:127]
	v_fma_f64 v[100:101], v[22:23], v[161:162], -v[84:85]
	v_fma_f64 v[22:23], v[44:45], v[177:178], v[102:103]
	v_fma_f64 v[20:21], v[20:21], v[169:170], -v[106:107]
	v_add_f64_e32 v[6:7], v[4:5], v[6:7]
	v_add_f64_e32 v[58:59], v[4:5], v[60:61]
	v_mul_f64_e32 v[60:61], v[46:47], v[159:160]
	v_fma_f64 v[46:47], v[46:47], v[157:158], v[74:75]
	v_add_f64_e32 v[74:75], v[90:91], v[56:57]
	v_fma_f64 v[72:73], v[108:109], s[14:15], v[118:119]
	v_fma_f64 v[78:79], v[108:109], s[20:21], v[120:121]
	v_mul_f64_e32 v[82:83], s[46:47], v[112:113]
	v_mul_f64_e32 v[86:87], s[30:31], v[112:113]
	v_add_f64_e32 v[2:3], v[2:3], v[6:7]
	v_add_f64_e32 v[6:7], v[30:31], v[58:59]
	v_mul_f64_e32 v[30:31], v[48:49], v[167:168]
	v_mul_f64_e32 v[58:59], v[12:13], v[175:176]
	v_fma_f64 v[98:99], v[8:9], v[157:158], -v[60:61]
	v_fma_f64 v[48:49], v[48:49], v[165:166], v[66:67]
	v_add_f64_e32 v[66:67], v[94:95], v[52:53]
	v_add_f64_e64 v[104:105], v[46:47], -v[18:19]
	v_fma_f64 v[8:9], v[74:75], s[24:25], v[114:115]
	v_fma_f64 v[60:61], v[74:75], s[20:21], v[110:111]
	v_add_f64_e32 v[2:3], v[72:73], v[2:3]
	v_add_f64_e32 v[6:7], v[78:79], v[6:7]
	v_mul_f64_e32 v[72:73], v[42:43], v[175:176]
	v_mul_f64_e32 v[78:79], v[44:45], v[179:180]
	v_fma_f64 v[50:51], v[10:11], v[165:166], -v[30:31]
	v_fma_f64 v[30:31], v[42:43], v[173:174], v[58:59]
	v_add_f64_e32 v[10:11], v[98:99], v[100:101]
	v_add_f64_e64 v[106:107], v[48:49], -v[28:29]
	v_mul_f64_e32 v[84:85], s[44:45], v[104:105]
	v_mul_f64_e32 v[102:103], s[40:41], v[104:105]
	v_fma_f64 v[58:59], v[66:67], s[34:35], v[82:83]
	v_fma_f64 v[153:154], v[66:67], s[2:3], v[86:87]
	v_add_f64_e32 v[2:3], v[60:61], v[2:3]
	v_add_f64_e32 v[8:9], v[8:9], v[6:7]
	v_fma_f64 v[42:43], v[12:13], v[173:174], -v[72:73]
	v_fma_f64 v[14:15], v[14:15], v[177:178], -v[78:79]
	v_add_f64_e32 v[6:7], v[50:51], v[20:21]
	v_add_f64_e64 v[78:79], v[30:31], -v[22:23]
	v_mul_f64_e32 v[44:45], s[38:39], v[106:107]
	v_mul_f64_e32 v[72:73], s[28:29], v[106:107]
	v_fma_f64 v[60:61], v[10:11], s[24:25], v[84:85]
	v_fma_f64 v[155:156], v[10:11], s[36:37], v[102:103]
	v_add_f64_e32 v[58:59], v[58:59], v[2:3]
	v_add_f64_e32 v[153:154], v[153:154], v[8:9]
	;; [unrolled: 1-line block ×3, first 2 shown]
	v_mul_f64_e32 v[8:9], s[48:49], v[78:79]
	v_mul_f64_e32 v[12:13], s[42:43], v[78:79]
	v_fma_f64 v[157:158], v[6:7], s[6:7], v[44:45]
	v_fma_f64 v[159:160], v[6:7], s[12:13], v[72:73]
	v_add_f64_e32 v[58:59], v[60:61], v[58:59]
	v_add_f64_e32 v[60:61], v[155:156], v[153:154]
	v_fma_f64 v[153:154], v[2:3], s[36:37], v[8:9]
	v_fma_f64 v[155:156], v[2:3], s[34:35], v[12:13]
	s_delay_alu instid0(VALU_DEP_4) | instskip(NEXT) | instid1(VALU_DEP_4)
	v_add_f64_e32 v[58:59], v[157:158], v[58:59]
	v_add_f64_e32 v[60:61], v[159:160], v[60:61]
	v_lshrrev_b32_e32 v158, 1, v140
	s_delay_alu instid0(VALU_DEP_3) | instskip(NEXT) | instid1(VALU_DEP_3)
	v_add_f64_e32 v[58:59], v[153:154], v[58:59]
	v_add_f64_e32 v[60:61], v[155:156], v[60:61]
	s_and_saveexec_b32 s33, s1
	s_cbranch_execz .LBB0_24
; %bb.23:
	v_add_f64_e32 v[153:154], v[4:5], v[68:69]
	v_mul_f64_e32 v[163:164], s[2:3], v[116:117]
	v_mul_f64_e32 v[165:166], s[6:7], v[116:117]
	;; [unrolled: 1-line block ×5, first 2 shown]
	s_mov_b32 s51, 0xbfeec746
	s_mov_b32 s50, s44
	v_mul_f64_e32 v[167:168], s[28:29], v[80:81]
	v_mul_f64_e32 v[169:170], s[40:41], v[80:81]
	;; [unrolled: 1-line block ×17, first 2 shown]
	s_mov_b32 s45, 0x3fe9895b
	s_mov_b32 s44, s16
	v_mul_f64_e32 v[195:196], s[24:25], v[74:75]
	v_mul_f64_e32 v[217:218], s[20:21], v[74:75]
	;; [unrolled: 1-line block ×6, first 2 shown]
	v_add_f64_e32 v[153:154], v[153:154], v[88:89]
	v_add_f64_e64 v[122:123], v[163:164], -v[122:123]
	v_add_f64_e64 v[128:129], v[165:166], -v[128:129]
	v_fma_f64 v[187:188], v[116:117], s[20:21], v[155:156]
	v_fma_f64 v[155:156], v[116:117], s[20:21], -v[155:156]
	v_fma_f64 v[189:190], v[116:117], s[34:35], v[159:160]
	v_fma_f64 v[159:160], v[116:117], s[34:35], -v[159:160]
	;; [unrolled: 2-line block ×4, first 2 shown]
	v_fma_f64 v[167:168], v[116:117], s[36:37], -v[169:170]
	v_fma_f64 v[193:194], v[116:117], s[24:25], -v[80:81]
	v_fma_f64 v[80:81], v[116:117], s[24:25], v[80:81]
	v_fma_f64 v[116:117], v[116:117], s[36:37], v[169:170]
	v_add_f64_e64 v[134:135], v[177:178], -v[134:135]
	v_add_f64_e64 v[132:133], v[179:180], -v[132:133]
	v_mul_f64_e32 v[169:170], s[28:29], v[136:137]
	v_mul_f64_e32 v[136:137], s[26:27], v[136:137]
	v_fma_f64 v[209:210], v[124:125], s[36:37], v[171:172]
	v_fma_f64 v[171:172], v[124:125], s[36:37], -v[171:172]
	v_fma_f64 v[211:212], v[124:125], s[6:7], v[173:174]
	v_fma_f64 v[173:174], v[124:125], s[6:7], -v[173:174]
	;; [unrolled: 2-line block ×6, first 2 shown]
	v_add_f64_e64 v[120:121], v[199:200], -v[120:121]
	v_add_f64_e64 v[118:119], v[203:204], -v[118:119]
	v_fma_f64 v[225:226], v[108:109], s[34:35], v[185:186]
	v_fma_f64 v[185:186], v[108:109], s[34:35], -v[185:186]
	v_fma_f64 v[229:230], v[108:109], s[36:37], v[197:198]
	v_fma_f64 v[197:198], v[108:109], s[36:37], -v[197:198]
	v_fma_f64 v[199:200], v[108:109], s[2:3], v[201:202]
	v_add_f64_e32 v[153:154], v[153:154], v[76:77]
	v_add_f64_e32 v[122:123], v[4:5], v[122:123]
	;; [unrolled: 1-line block ×15, first 2 shown]
	v_mul_f64_e32 v[116:117], s[42:43], v[126:127]
	v_mul_f64_e32 v[193:194], s[26:27], v[126:127]
	s_wait_alu 0xfffe
	v_mul_f64_e32 v[126:127], s[44:45], v[126:127]
	v_fma_f64 v[227:228], v[108:109], s[12:13], v[169:170]
	v_fma_f64 v[169:170], v[108:109], s[12:13], -v[169:170]
	v_fma_f64 v[201:202], v[108:109], s[2:3], -v[201:202]
	v_fma_f64 v[203:204], v[108:109], s[24:25], v[205:206]
	v_fma_f64 v[205:206], v[108:109], s[24:25], -v[205:206]
	v_fma_f64 v[231:232], v[108:109], s[6:7], v[136:137]
	v_fma_f64 v[108:109], v[108:109], s[6:7], -v[136:137]
	s_mov_b32 s29, 0x3fefdd0d
	v_add_f64_e64 v[114:115], v[195:196], -v[114:115]
	v_add_f64_e64 v[110:111], v[217:218], -v[110:111]
	v_fma_f64 v[195:196], v[74:75], s[36:37], -v[219:220]
	v_add_f64_e64 v[82:83], v[223:224], -v[82:83]
	v_add_f64_e32 v[153:154], v[153:154], v[90:91]
	v_add_f64_e32 v[122:123], v[132:133], v[122:123]
	;; [unrolled: 1-line block ×15, first 2 shown]
	v_mul_f64_e32 v[165:166], s[2:3], v[66:67]
	v_mul_f64_e32 v[167:168], s[16:17], v[112:113]
	;; [unrolled: 1-line block ×5, first 2 shown]
	s_wait_alu 0xfffe
	v_mul_f64_e32 v[179:180], s[28:29], v[112:113]
	v_mul_f64_e32 v[112:113], s[50:51], v[112:113]
	v_fma_f64 v[181:182], v[74:75], s[2:3], v[207:208]
	v_fma_f64 v[183:184], v[74:75], s[2:3], -v[207:208]
	v_fma_f64 v[187:188], v[74:75], s[34:35], v[116:117]
	v_fma_f64 v[116:117], v[74:75], s[34:35], -v[116:117]
	;; [unrolled: 2-line block ×3, first 2 shown]
	v_fma_f64 v[193:194], v[74:75], s[36:37], v[219:220]
	v_fma_f64 v[207:208], v[74:75], s[12:13], v[221:222]
	v_fma_f64 v[209:210], v[74:75], s[12:13], -v[221:222]
	v_fma_f64 v[211:212], v[74:75], s[14:15], v[126:127]
	v_fma_f64 v[74:75], v[74:75], s[14:15], -v[126:127]
	v_add_f64_e32 v[153:154], v[153:154], v[94:95]
	v_add_f64_e32 v[118:119], v[118:119], v[122:123]
	;; [unrolled: 1-line block ×15, first 2 shown]
	v_mul_f64_e32 v[134:135], s[24:25], v[10:11]
	v_add_f64_e64 v[86:87], v[165:166], -v[86:87]
	v_mul_f64_e32 v[163:164], s[38:39], v[104:105]
	v_mul_f64_e32 v[169:170], s[22:23], v[104:105]
	;; [unrolled: 1-line block ×6, first 2 shown]
	v_fma_f64 v[199:200], v[66:67], s[14:15], v[167:168]
	v_fma_f64 v[167:168], v[66:67], s[14:15], -v[167:168]
	v_fma_f64 v[201:202], v[66:67], s[36:37], v[173:174]
	v_fma_f64 v[173:174], v[66:67], s[36:37], -v[173:174]
	;; [unrolled: 2-line block ×6, first 2 shown]
	v_add_f64_e32 v[153:154], v[153:154], v[98:99]
	v_add_f64_e32 v[110:111], v[110:111], v[118:119]
	;; [unrolled: 1-line block ×15, first 2 shown]
	v_mul_f64_e32 v[128:129], s[6:7], v[6:7]
	v_add_f64_e64 v[84:85], v[134:135], -v[84:85]
	v_mul_f64_e32 v[155:156], s[30:31], v[106:107]
	v_mul_f64_e32 v[159:160], s[22:23], v[106:107]
	;; [unrolled: 1-line block ×6, first 2 shown]
	v_fma_f64 v[187:188], v[10:11], s[6:7], v[163:164]
	v_fma_f64 v[163:164], v[10:11], s[6:7], -v[163:164]
	v_fma_f64 v[189:190], v[10:11], s[20:21], v[169:170]
	v_fma_f64 v[169:170], v[10:11], s[20:21], -v[169:170]
	;; [unrolled: 2-line block ×4, first 2 shown]
	v_fma_f64 v[134:135], v[10:11], s[14:15], v[197:198]
	v_fma_f64 v[195:196], v[10:11], s[12:13], v[104:105]
	v_add_f64_e32 v[153:154], v[153:154], v[50:51]
	v_add_f64_e32 v[82:83], v[82:83], v[110:111]
	;; [unrolled: 1-line block ×4, first 2 shown]
	v_mul_f64_e32 v[173:174], s[28:29], v[78:79]
	v_add_f64_e32 v[116:117], v[179:180], v[116:117]
	v_add_f64_e32 v[110:111], v[205:206], v[118:119]
	;; [unrolled: 1-line block ×7, first 2 shown]
	v_mul_f64_e32 v[120:121], s[36:37], v[2:3]
	v_mul_f64_e32 v[122:123], s[34:35], v[2:3]
	v_add_f64_e64 v[44:45], v[128:129], -v[44:45]
	v_fma_f64 v[175:176], v[6:7], s[2:3], v[155:156]
	v_fma_f64 v[155:156], v[6:7], s[2:3], -v[155:156]
	v_fma_f64 v[177:178], v[6:7], s[20:21], v[159:160]
	v_fma_f64 v[159:160], v[6:7], s[20:21], -v[159:160]
	v_fma_f64 v[179:180], v[6:7], s[36:37], v[161:162]
	v_fma_f64 v[161:162], v[6:7], s[36:37], -v[161:162]
	v_fma_f64 v[128:129], v[6:7], s[34:35], v[181:182]
	v_add_f64_e32 v[153:154], v[153:154], v[42:43]
	v_add_f64_e32 v[82:83], v[84:85], v[82:83]
	;; [unrolled: 1-line block ×7, first 2 shown]
	v_add_f64_e64 v[8:9], v[120:121], -v[8:9]
	v_add_f64_e64 v[12:13], v[122:123], -v[12:13]
	v_add_f64_e32 v[153:154], v[153:154], v[14:15]
	v_add_f64_e32 v[44:45], v[44:45], v[82:83]
	;; [unrolled: 1-line block ×8, first 2 shown]
	s_delay_alu instid0(VALU_DEP_2) | instskip(SKIP_1) | instid1(VALU_DEP_2)
	v_add_f64_e32 v[132:133], v[153:154], v[100:101]
	v_mul_f64_e32 v[153:154], s[36:37], v[10:11]
	v_add_f64_e32 v[124:125], v[132:133], v[52:53]
	v_mul_f64_e32 v[132:133], s[12:13], v[6:7]
	s_delay_alu instid0(VALU_DEP_3)
	v_add_f64_e64 v[102:103], v[153:154], -v[102:103]
	v_fma_f64 v[153:154], v[10:11], s[14:15], -v[197:198]
	v_fma_f64 v[10:11], v[10:11], s[12:13], -v[104:105]
	v_add_f64_e32 v[104:105], v[199:200], v[112:113]
	v_add_f64_e32 v[112:113], v[167:168], v[126:127]
	;; [unrolled: 1-line block ×4, first 2 shown]
	v_mul_f64_e32 v[136:137], s[16:17], v[78:79]
	v_mul_f64_e32 v[165:166], s[30:31], v[78:79]
	;; [unrolled: 1-line block ×3, first 2 shown]
	v_fma_f64 v[197:198], v[6:7], s[14:15], v[106:107]
	v_add_f64_e32 v[118:119], v[124:125], v[56:57]
	v_add_f64_e64 v[72:73], v[132:133], -v[72:73]
	v_add_f64_e32 v[86:87], v[102:103], v[86:87]
	v_mul_f64_e32 v[124:125], s[38:39], v[78:79]
	v_mul_f64_e32 v[78:79], s[50:51], v[78:79]
	v_fma_f64 v[132:133], v[6:7], s[34:35], -v[181:182]
	v_fma_f64 v[181:182], v[6:7], s[24:25], v[183:184]
	v_fma_f64 v[183:184], v[6:7], s[24:25], -v[183:184]
	v_fma_f64 v[6:7], v[6:7], s[14:15], -v[106:107]
	v_add_f64_e32 v[104:105], v[187:188], v[104:105]
	v_add_f64_e32 v[106:107], v[163:164], v[112:113]
	v_add_f64_e32 v[112:113], v[189:190], v[126:127]
	v_add_f64_e32 v[126:127], v[191:192], v[130:131]
	v_add_f64_e32 v[102:103], v[185:186], v[114:115]
	v_add_f64_e32 v[10:11], v[10:11], v[108:109]
	v_add_f64_e32 v[66:67], v[153:154], v[66:67]
	v_fma_f64 v[130:131], v[2:3], s[2:3], v[165:166]
	v_fma_f64 v[134:135], v[2:3], s[2:3], -v[165:166]
	v_fma_f64 v[120:121], v[2:3], s[20:21], v[167:168]
	v_fma_f64 v[122:123], v[2:3], s[20:21], -v[167:168]
	v_fma_f64 v[153:154], v[2:3], s[12:13], -v[173:174]
	v_add_f64_e32 v[82:83], v[197:198], v[84:85]
	v_add_f64_e32 v[108:109], v[118:119], v[54:55]
	v_fma_f64 v[118:119], v[2:3], s[14:15], v[136:137]
	v_add_f64_e32 v[72:73], v[72:73], v[86:87]
	v_fma_f64 v[110:111], v[2:3], s[6:7], v[124:125]
	v_fma_f64 v[114:115], v[2:3], s[6:7], -v[124:125]
	v_fma_f64 v[124:125], v[2:3], s[14:15], -v[136:137]
	v_fma_f64 v[136:137], v[2:3], s[12:13], v[173:174]
	v_fma_f64 v[163:164], v[2:3], s[24:25], v[78:79]
	v_fma_f64 v[2:3], v[2:3], s[24:25], -v[78:79]
	v_add_f64_e32 v[78:79], v[181:182], v[104:105]
	v_add_f64_e32 v[104:105], v[183:184], v[106:107]
	;; [unrolled: 1-line block ×9, first 2 shown]
	v_mul_u32_u24_e32 v82, 34, v158
	s_delay_alu instid0(VALU_DEP_1) | instskip(NEXT) | instid1(VALU_DEP_1)
	v_or_b32_e32 v82, v82, v151
	v_lshlrev_b32_e32 v82, 3, v82
	s_delay_alu instid0(VALU_DEP_1)
	v_add3_u32 v82, 0, v82, v148
	v_add_f64_e32 v[84:85], v[108:109], v[92:93]
	v_add_f64_e32 v[12:13], v[12:13], v[72:73]
	;; [unrolled: 1-line block ×13, first 2 shown]
	ds_store_2addr_b64 v82, v[60:61], v[58:59] offset0:28 offset1:30
	ds_store_2addr_b64 v82, v[8:9], v[12:13] offset0:4 offset1:6
	;; [unrolled: 1-line block ×7, first 2 shown]
	ds_store_2addr_b64 v82, v[80:81], v[66:67] offset1:2
	ds_store_b64 v82, v[4:5] offset:256
.LBB0_24:
	s_or_b32 exec_lo, exec_lo, s33
	v_add_nc_u32_e32 v10, 0, v148
	v_add3_u32 v153, 0, v152, v148
	global_wb scope:SCOPE_SE
	s_wait_dscnt 0x0
	s_barrier_signal -1
	s_barrier_wait -1
	v_add_nc_u32_e32 v136, v10, v152
	v_lshl_add_u32 v137, v145, 3, v10
	v_add_nc_u32_e32 v11, 0x1800, v153
	v_add_nc_u32_e32 v2, 0xc00, v153
	;; [unrolled: 1-line block ×3, first 2 shown]
	v_lshl_add_u32 v154, v147, 3, v10
	v_lshl_add_u32 v155, v144, 3, v10
	;; [unrolled: 1-line block ×4, first 2 shown]
	global_inv scope:SCOPE_SE
	ds_load_b64 v[72:73], v136
	ds_load_2addr_b64 v[6:9], v2 offset0:126 offset1:194
	v_lshl_add_u32 v152, v143, 3, v10
	ds_load_b64 v[74:75], v137
	ds_load_2addr_b64 v[2:5], v3 offset0:134 offset1:202
	ds_load_2addr_b64 v[10:13], v11 offset0:14 offset1:82
	ds_load_b64 v[78:79], v154
	ds_load_b64 v[80:81], v155
	;; [unrolled: 1-line block ×5, first 2 shown]
	ds_load_b64 v[66:67], v153 offset:7344
	s_and_saveexec_b32 s2, s0
	s_cbranch_execz .LBB0_26
; %bb.25:
	ds_load_b64 v[60:61], v153 offset:3808
	ds_load_b64 v[58:59], v153 offset:7888
.LBB0_26:
	s_wait_alu 0xfffe
	s_or_b32 exec_lo, exec_lo, s2
	v_add_f64_e64 v[134:135], v[68:69], -v[70:71]
	s_mov_b32 s26, 0x2a9d6da3
	s_mov_b32 s40, 0x7c9e640b
	;; [unrolled: 1-line block ×4, first 2 shown]
	v_add_f64_e32 v[120:121], v[40:41], v[34:35]
	v_add_f64_e64 v[132:133], v[88:89], -v[92:93]
	s_mov_b32 s6, 0x75d4884
	s_mov_b32 s2, 0x2b2883cd
	;; [unrolled: 1-line block ×8, first 2 shown]
	v_add_f64_e32 v[118:119], v[62:63], v[32:33]
	v_add_f64_e64 v[126:127], v[76:77], -v[54:55]
	s_mov_b32 s25, 0x3fc7851a
	s_mov_b32 s24, 0xacd6c6b4
	v_add_f64_e32 v[110:111], v[64:65], v[24:25]
	v_add_f64_e64 v[116:117], v[90:91], -v[56:57]
	s_mov_b32 s18, 0x7faef3
	s_mov_b32 s46, 0x923c349f
	;; [unrolled: 1-line block ×4, first 2 shown]
	v_add_f64_e32 v[102:103], v[38:39], v[26:27]
	v_add_f64_e64 v[108:109], v[94:95], -v[52:53]
	s_mov_b32 s22, 0xc61f0d01
	s_mov_b32 s50, 0x4363dd80
	s_mov_b32 s23, 0xbfd183b1
	s_mov_b32 s51, 0x3fe0d888
	s_wait_alu 0xfffe
	s_mov_b32 s30, s26
	v_add_f64_e32 v[92:93], v[36:37], v[16:17]
	v_add_f64_e64 v[94:95], v[98:99], -v[100:101]
	s_mov_b32 s28, 0x910ea3b9
	s_mov_b32 s38, 0x5d8e7cdc
	;; [unrolled: 1-line block ×4, first 2 shown]
	v_mul_f64_e32 v[128:129], s[26:27], v[134:135]
	v_mul_f64_e32 v[130:131], s[40:41], v[134:135]
	v_add_f64_e64 v[90:91], v[50:51], -v[20:21]
	s_mov_b32 s34, 0x370991
	s_mov_b32 s35, 0x3fedd6d0
	;; [unrolled: 1-line block ×3, first 2 shown]
	v_mul_f64_e32 v[122:123], s[16:17], v[132:133]
	v_mul_f64_e32 v[124:125], s[20:21], v[132:133]
	s_mov_b32 s36, s40
	v_add_f64_e32 v[20:21], v[48:49], v[28:29]
	s_mov_b32 s45, 0xbfe0d888
	s_wait_alu 0xfffe
	s_mov_b32 s48, s38
	s_mov_b32 s44, s50
	global_wb scope:SCOPE_SE
	s_wait_dscnt 0x0
	s_barrier_signal -1
	s_barrier_wait -1
	v_mul_f64_e32 v[112:113], s[20:21], v[126:127]
	v_mul_f64_e32 v[114:115], s[24:25], v[126:127]
	s_mov_b32 s25, 0xbfc7851a
	global_inv scope:SCOPE_SE
	v_mul_f64_e32 v[104:105], s[46:47], v[116:117]
	s_wait_alu 0xfffe
	v_mul_f64_e32 v[106:107], s[24:25], v[116:117]
	v_mul_f64_e32 v[98:99], s[50:51], v[108:109]
	;; [unrolled: 1-line block ×5, first 2 shown]
	v_fma_f64 v[44:45], v[120:121], s[6:7], -v[128:129]
	v_fma_f64 v[54:55], v[120:121], s[2:3], -v[130:131]
	v_mul_f64_e32 v[50:51], s[36:37], v[90:91]
	v_fma_f64 v[56:57], v[118:119], s[12:13], -v[122:123]
	v_fma_f64 v[68:69], v[118:119], s[14:15], -v[124:125]
	;; [unrolled: 1-line block ×6, first 2 shown]
	v_add_f64_e32 v[44:45], v[0:1], v[44:45]
	v_add_f64_e32 v[54:55], v[0:1], v[54:55]
	s_delay_alu instid0(VALU_DEP_2) | instskip(NEXT) | instid1(VALU_DEP_2)
	v_add_f64_e32 v[44:45], v[56:57], v[44:45]
	v_add_f64_e32 v[54:55], v[68:69], v[54:55]
	v_fma_f64 v[68:69], v[102:103], s[22:23], -v[104:105]
	v_add_f64_e32 v[56:57], v[46:47], v[18:19]
	s_delay_alu instid0(VALU_DEP_4) | instskip(NEXT) | instid1(VALU_DEP_4)
	v_add_f64_e32 v[44:45], v[52:53], v[44:45]
	v_add_f64_e32 v[52:53], v[70:71], v[54:55]
	v_fma_f64 v[70:71], v[92:93], s[28:29], -v[98:99]
	v_add_f64_e64 v[54:55], v[42:43], -v[14:15]
	v_fma_f64 v[163:164], v[56:57], s[34:35], -v[88:89]
	v_add_f64_e32 v[14:15], v[30:31], v[22:23]
	v_add_f64_e32 v[44:45], v[159:160], v[44:45]
	;; [unrolled: 1-line block ×3, first 2 shown]
	v_mul_f64_e32 v[52:53], s[16:17], v[90:91]
	v_fma_f64 v[159:160], v[56:57], s[22:23], -v[76:77]
	v_mul_f64_e32 v[42:43], s[48:49], v[54:55]
	v_add_f64_e32 v[70:71], v[70:71], v[44:45]
	v_add_f64_e32 v[68:69], v[161:162], v[68:69]
	v_mul_f64_e32 v[44:45], s[44:45], v[54:55]
	v_fma_f64 v[161:162], v[20:21], s[2:3], -v[50:51]
	v_fma_f64 v[165:166], v[20:21], s[12:13], -v[52:53]
	v_add_f64_e32 v[70:71], v[159:160], v[70:71]
	v_add_f64_e32 v[68:69], v[163:164], v[68:69]
	v_fma_f64 v[159:160], v[14:15], s[34:35], -v[42:43]
	v_fma_f64 v[163:164], v[14:15], s[28:29], -v[44:45]
	s_delay_alu instid0(VALU_DEP_4) | instskip(NEXT) | instid1(VALU_DEP_4)
	v_add_f64_e32 v[70:71], v[161:162], v[70:71]
	v_add_f64_e32 v[68:69], v[165:166], v[68:69]
	s_delay_alu instid0(VALU_DEP_2) | instskip(NEXT) | instid1(VALU_DEP_2)
	v_add_f64_e32 v[70:71], v[159:160], v[70:71]
	v_add_f64_e32 v[68:69], v[163:164], v[68:69]
	s_and_saveexec_b32 s33, s1
	s_cbranch_execz .LBB0_28
; %bb.27:
	v_add_f64_e32 v[40:41], v[0:1], v[40:41]
	v_mul_f64_e32 v[159:160], s[44:45], v[134:135]
	s_mov_b32 s43, 0xbfeec746
	v_mul_f64_e32 v[161:162], s[24:25], v[134:135]
	s_mov_b32 s42, s46
	v_mul_f64_e32 v[163:164], s[12:13], v[118:119]
	v_mul_f64_e32 v[165:166], s[14:15], v[118:119]
	;; [unrolled: 1-line block ×12, first 2 shown]
	s_mov_b32 s47, 0x3fe9895b
	s_mov_b32 s46, s20
	v_mul_f64_e32 v[183:184], s[18:19], v[102:103]
	v_mul_f64_e32 v[203:204], s[40:41], v[116:117]
	;; [unrolled: 1-line block ×4, first 2 shown]
	v_add_f64_e32 v[40:41], v[40:41], v[62:63]
	v_mul_f64_e32 v[62:63], s[16:17], v[134:135]
	v_fma_f64 v[177:178], v[120:121], s[28:29], v[159:160]
	v_fma_f64 v[179:180], v[120:121], s[18:19], v[161:162]
	v_fma_f64 v[161:162], v[120:121], s[18:19], -v[161:162]
	v_fma_f64 v[159:160], v[120:121], s[28:29], -v[159:160]
	v_add_f64_e32 v[122:123], v[122:123], v[163:164]
	v_add_f64_e32 v[124:125], v[124:125], v[165:166]
	v_fma_f64 v[163:164], v[118:119], s[18:19], v[167:168]
	v_fma_f64 v[165:166], v[118:119], s[18:19], -v[167:168]
	v_fma_f64 v[167:168], v[118:119], s[28:29], v[169:170]
	v_fma_f64 v[169:170], v[118:119], s[28:29], -v[169:170]
	;; [unrolled: 2-line block ×5, first 2 shown]
	v_fma_f64 v[213:214], v[110:111], s[12:13], v[193:194]
	v_fma_f64 v[209:210], v[110:111], s[2:3], v[185:186]
	v_fma_f64 v[185:186], v[110:111], s[2:3], -v[185:186]
	v_fma_f64 v[193:194], v[110:111], s[12:13], -v[193:194]
	v_fma_f64 v[215:216], v[110:111], s[28:29], v[126:127]
	v_add_f64_e32 v[106:107], v[106:107], v[183:184]
	v_fma_f64 v[183:184], v[102:103], s[6:7], v[207:208]
	v_add_f64_e32 v[40:41], v[40:41], v[64:65]
	v_mul_f64_e32 v[64:65], s[20:21], v[134:135]
	v_add_f64_e32 v[161:162], v[0:1], v[161:162]
	v_add_f64_e32 v[159:160], v[0:1], v[159:160]
	s_delay_alu instid0(VALU_DEP_4) | instskip(SKIP_1) | instid1(VALU_DEP_2)
	v_add_f64_e32 v[38:39], v[40:41], v[38:39]
	v_mul_f64_e32 v[40:41], s[6:7], v[120:121]
	v_add_f64_e32 v[36:37], v[38:39], v[36:37]
	v_mul_f64_e32 v[38:39], s[38:39], v[134:135]
	s_wait_alu 0xfffe
	v_mul_f64_e32 v[134:135], s[42:43], v[134:135]
	s_delay_alu instid0(VALU_DEP_4)
	v_add_f64_e32 v[40:41], v[128:129], v[40:41]
	v_fma_f64 v[128:129], v[120:121], s[12:13], v[62:63]
	v_fma_f64 v[62:63], v[120:121], s[12:13], -v[62:63]
	v_add_f64_e32 v[36:37], v[36:37], v[46:47]
	v_mul_f64_e32 v[46:47], s[2:3], v[120:121]
	v_fma_f64 v[175:176], v[120:121], s[34:35], v[38:39]
	v_fma_f64 v[181:182], v[120:121], s[22:23], v[134:135]
	v_fma_f64 v[134:135], v[120:121], s[22:23], -v[134:135]
	v_add_f64_e32 v[40:41], v[0:1], v[40:41]
	v_add_f64_e32 v[128:129], v[0:1], v[128:129]
	;; [unrolled: 1-line block ×5, first 2 shown]
	v_mul_f64_e32 v[48:49], s[26:27], v[132:133]
	v_mul_f64_e32 v[132:133], s[48:49], v[132:133]
	v_fma_f64 v[130:131], v[120:121], s[14:15], v[64:65]
	v_fma_f64 v[64:65], v[120:121], s[14:15], -v[64:65]
	v_add_f64_e32 v[134:135], v[0:1], v[134:135]
	v_add_f64_e32 v[40:41], v[122:123], v[40:41]
	;; [unrolled: 1-line block ×4, first 2 shown]
	v_mul_f64_e32 v[163:164], s[24:25], v[108:109]
	v_mul_f64_e32 v[165:166], s[38:39], v[108:109]
	v_add_f64_e32 v[30:31], v[36:37], v[30:31]
	v_fma_f64 v[36:37], v[120:121], s[34:35], -v[38:39]
	v_mul_f64_e32 v[38:39], s[14:15], v[110:111]
	v_mul_f64_e32 v[120:121], s[18:19], v[110:111]
	v_add_f64_e32 v[46:47], v[0:1], v[46:47]
	v_fma_f64 v[195:196], v[118:119], s[6:7], v[48:49]
	v_fma_f64 v[48:49], v[118:119], s[6:7], -v[48:49]
	v_fma_f64 v[201:202], v[118:119], s[34:35], v[132:133]
	v_fma_f64 v[118:119], v[118:119], s[34:35], -v[132:133]
	v_add_f64_e32 v[132:133], v[0:1], v[175:176]
	v_add_f64_e32 v[130:131], v[0:1], v[130:131]
	;; [unrolled: 1-line block ×6, first 2 shown]
	v_mul_f64_e32 v[181:182], s[48:49], v[116:117]
	v_add_f64_e32 v[134:135], v[169:170], v[134:135]
	v_mul_f64_e32 v[169:170], s[42:43], v[108:109]
	v_add_f64_e32 v[22:23], v[30:31], v[22:23]
	v_add_f64_e32 v[0:1], v[0:1], v[36:37]
	v_mul_f64_e32 v[30:31], s[22:23], v[102:103]
	v_add_f64_e32 v[38:39], v[112:113], v[38:39]
	v_add_f64_e32 v[112:113], v[114:115], v[120:121]
	;; [unrolled: 1-line block ×3, first 2 shown]
	v_mul_f64_e32 v[36:37], s[16:17], v[116:117]
	v_mul_f64_e32 v[116:117], s[46:47], v[116:117]
	v_fma_f64 v[114:115], v[110:111], s[22:23], v[187:188]
	v_fma_f64 v[120:121], v[110:111], s[22:23], -v[187:188]
	v_add_f64_e32 v[124:125], v[197:198], v[130:131]
	v_add_f64_e32 v[64:65], v[171:172], v[64:65]
	;; [unrolled: 1-line block ×3, first 2 shown]
	v_fma_f64 v[187:188], v[110:111], s[6:7], v[189:190]
	v_fma_f64 v[189:190], v[110:111], s[6:7], -v[189:190]
	v_fma_f64 v[110:111], v[110:111], s[28:29], -v[126:127]
	v_add_f64_e32 v[130:131], v[201:202], v[177:178]
	v_add_f64_e32 v[118:119], v[118:119], v[161:162]
	;; [unrolled: 1-line block ×5, first 2 shown]
	s_mov_b32 s17, 0x3fefdd0d
	v_mul_f64_e32 v[161:162], s[40:41], v[108:109]
	v_mul_f64_e32 v[167:168], s[20:21], v[108:109]
	s_wait_alu 0xfffe
	v_mul_f64_e32 v[108:109], s[16:17], v[108:109]
	v_fma_f64 v[173:174], v[102:103], s[34:35], -v[181:182]
	v_fma_f64 v[179:180], v[102:103], s[28:29], v[205:206]
	v_fma_f64 v[195:196], v[102:103], s[6:7], -v[207:208]
	v_fma_f64 v[175:176], v[102:103], s[2:3], v[203:204]
	v_fma_f64 v[177:178], v[102:103], s[2:3], -v[203:204]
	v_add_f64_e32 v[22:23], v[22:23], v[28:29]
	v_add_f64_e32 v[0:1], v[48:49], v[0:1]
	v_mul_f64_e32 v[28:29], s[28:29], v[92:93]
	v_mul_f64_e32 v[48:49], s[6:7], v[92:93]
	v_add_f64_e32 v[30:31], v[104:105], v[30:31]
	v_add_f64_e32 v[38:39], v[38:39], v[40:41]
	;; [unrolled: 1-line block ×3, first 2 shown]
	v_fma_f64 v[104:105], v[102:103], s[34:35], v[181:182]
	v_fma_f64 v[181:182], v[102:103], s[28:29], -v[205:206]
	v_fma_f64 v[197:198], v[102:103], s[14:15], v[116:117]
	v_add_f64_e32 v[46:47], v[114:115], v[122:123]
	v_add_f64_e32 v[62:63], v[120:121], v[62:63]
	;; [unrolled: 1-line block ×5, first 2 shown]
	v_fma_f64 v[171:172], v[102:103], s[12:13], v[36:37]
	v_add_f64_e32 v[120:121], v[215:216], v[130:131]
	v_add_f64_e32 v[110:111], v[110:111], v[118:119]
	v_fma_f64 v[36:37], v[102:103], s[12:13], -v[36:37]
	v_fma_f64 v[102:103], v[102:103], s[14:15], -v[116:117]
	v_add_f64_e32 v[118:119], v[193:194], v[132:133]
	v_add_f64_e32 v[122:123], v[187:188], v[159:160]
	;; [unrolled: 1-line block ×4, first 2 shown]
	v_mul_f64_e32 v[126:127], s[34:35], v[56:57]
	v_mul_f64_e32 v[130:131], s[44:45], v[94:95]
	;; [unrolled: 1-line block ×4, first 2 shown]
	v_fma_f64 v[187:188], v[92:93], s[14:15], v[167:168]
	v_fma_f64 v[167:168], v[92:93], s[14:15], -v[167:168]
	v_fma_f64 v[189:190], v[92:93], s[22:23], v[169:170]
	v_fma_f64 v[169:170], v[92:93], s[22:23], -v[169:170]
	v_fma_f64 v[191:192], v[92:93], s[12:13], v[108:109]
	v_mul_f64_e32 v[159:160], s[36:37], v[94:95]
	v_mul_f64_e32 v[128:129], s[20:21], v[94:95]
	;; [unrolled: 1-line block ×3, first 2 shown]
	v_add_f64_e32 v[18:19], v[22:23], v[18:19]
	v_add_f64_e32 v[0:1], v[185:186], v[0:1]
	v_mul_f64_e32 v[22:23], s[22:23], v[56:57]
	v_add_f64_e32 v[28:29], v[98:99], v[28:29]
	v_add_f64_e32 v[48:49], v[100:101], v[48:49]
	v_add_f64_e32 v[38:39], v[106:107], v[38:39]
	v_add_f64_e32 v[30:31], v[30:31], v[40:41]
	v_fma_f64 v[98:99], v[92:93], s[2:3], v[161:162]
	v_fma_f64 v[100:101], v[92:93], s[2:3], -v[161:162]
	v_fma_f64 v[161:162], v[92:93], s[18:19], v[163:164]
	v_fma_f64 v[163:164], v[92:93], s[18:19], -v[163:164]
	;; [unrolled: 2-line block ×3, first 2 shown]
	v_fma_f64 v[92:93], v[92:93], s[12:13], -v[108:109]
	v_add_f64_e32 v[40:41], v[104:105], v[46:47]
	v_add_f64_e32 v[46:47], v[173:174], v[62:63]
	;; [unrolled: 1-line block ×11, first 2 shown]
	v_mul_f64_e32 v[118:119], s[38:39], v[90:91]
	v_mul_f64_e32 v[120:121], s[24:25], v[90:91]
	;; [unrolled: 1-line block ×4, first 2 shown]
	v_fma_f64 v[173:174], v[56:57], s[18:19], v[134:135]
	v_mul_f64_e32 v[116:117], s[44:45], v[90:91]
	v_mul_f64_e32 v[90:91], s[42:43], v[90:91]
	v_fma_f64 v[134:135], v[56:57], s[18:19], -v[134:135]
	v_fma_f64 v[175:176], v[56:57], s[2:3], v[159:160]
	v_fma_f64 v[159:160], v[56:57], s[2:3], -v[159:160]
	v_fma_f64 v[177:178], v[56:57], s[12:13], v[94:95]
	v_fma_f64 v[171:172], v[56:57], s[14:15], v[128:129]
	v_fma_f64 v[128:129], v[56:57], s[14:15], -v[128:129]
	v_add_f64_e32 v[16:17], v[18:19], v[16:17]
	v_add_f64_e32 v[0:1], v[36:37], v[0:1]
	v_mul_f64_e32 v[18:19], s[2:3], v[20:21]
	v_mul_f64_e32 v[36:37], s[12:13], v[20:21]
	v_add_f64_e32 v[22:23], v[76:77], v[22:23]
	v_add_f64_e32 v[76:77], v[88:89], v[126:127]
	v_add_f64_e32 v[28:29], v[28:29], v[38:39]
	v_add_f64_e32 v[30:31], v[48:49], v[30:31]
	v_fma_f64 v[88:89], v[56:57], s[28:29], v[130:131]
	v_fma_f64 v[126:127], v[56:57], s[28:29], -v[130:131]
	v_fma_f64 v[130:131], v[56:57], s[6:7], v[132:133]
	v_fma_f64 v[132:133], v[56:57], s[6:7], -v[132:133]
	v_fma_f64 v[56:57], v[56:57], s[12:13], -v[94:95]
	v_add_f64_e32 v[38:39], v[98:99], v[40:41]
	v_add_f64_e32 v[40:41], v[100:101], v[46:47]
	;; [unrolled: 1-line block ×11, first 2 shown]
	v_mul_f64_e32 v[104:105], s[28:29], v[14:15]
	v_mul_f64_e32 v[106:107], s[24:25], v[54:55]
	;; [unrolled: 1-line block ×5, first 2 shown]
	v_fma_f64 v[163:164], v[20:21], s[6:7], v[122:123]
	v_fma_f64 v[165:166], v[20:21], s[14:15], v[124:125]
	v_fma_f64 v[124:125], v[20:21], s[14:15], -v[124:125]
	v_mul_f64_e32 v[110:111], s[20:21], v[54:55]
	v_mul_f64_e32 v[54:55], s[16:17], v[54:55]
	v_fma_f64 v[161:162], v[20:21], s[28:29], v[116:117]
	v_fma_f64 v[116:117], v[20:21], s[28:29], -v[116:117]
	v_fma_f64 v[122:123], v[20:21], s[6:7], -v[122:123]
	v_add_f64_e32 v[16:17], v[16:17], v[26:27]
	v_add_f64_e32 v[0:1], v[169:170], v[0:1]
	v_mul_f64_e32 v[26:27], s[34:35], v[14:15]
	v_add_f64_e32 v[18:19], v[50:51], v[18:19]
	v_add_f64_e32 v[36:37], v[52:53], v[36:37]
	v_fma_f64 v[50:51], v[20:21], s[34:35], v[118:119]
	v_add_f64_e32 v[22:23], v[22:23], v[28:29]
	v_add_f64_e32 v[28:29], v[76:77], v[30:31]
	v_fma_f64 v[52:53], v[20:21], s[34:35], -v[118:119]
	v_fma_f64 v[118:119], v[20:21], s[18:19], v[120:121]
	v_fma_f64 v[120:121], v[20:21], s[18:19], -v[120:121]
	v_fma_f64 v[167:168], v[20:21], s[22:23], v[90:91]
	v_fma_f64 v[20:21], v[20:21], s[22:23], -v[90:91]
	v_add_f64_e32 v[30:31], v[88:89], v[38:39]
	v_add_f64_e32 v[38:39], v[126:127], v[40:41]
	;; [unrolled: 1-line block ×11, first 2 shown]
	v_fma_f64 v[92:93], v[14:15], s[18:19], -v[106:107]
	v_fma_f64 v[94:95], v[14:15], s[6:7], -v[108:109]
	v_fma_f64 v[102:103], v[14:15], s[2:3], v[112:113]
	v_fma_f64 v[98:99], v[14:15], s[14:15], v[110:111]
	v_fma_f64 v[100:101], v[14:15], s[14:15], -v[110:111]
	v_fma_f64 v[110:111], v[14:15], s[12:13], v[54:55]
	v_add_f64_e32 v[16:17], v[16:17], v[24:25]
	v_add_f64_e32 v[0:1], v[128:129], v[0:1]
	;; [unrolled: 1-line block ×4, first 2 shown]
	v_fma_f64 v[24:25], v[14:15], s[18:19], v[106:107]
	v_fma_f64 v[44:45], v[14:15], s[6:7], v[108:109]
	v_add_f64_e32 v[18:19], v[18:19], v[22:23]
	v_add_f64_e32 v[22:23], v[36:37], v[28:29]
	v_fma_f64 v[106:107], v[14:15], s[22:23], v[114:115]
	v_fma_f64 v[104:105], v[14:15], s[2:3], -v[112:113]
	v_fma_f64 v[108:109], v[14:15], s[22:23], -v[114:115]
	;; [unrolled: 1-line block ×3, first 2 shown]
	v_add_f64_e32 v[28:29], v[165:166], v[30:31]
	v_add_f64_e32 v[30:31], v[124:125], v[38:39]
	;; [unrolled: 1-line block ×28, first 2 shown]
	v_mul_u32_u24_e32 v34, 34, v158
	s_delay_alu instid0(VALU_DEP_1) | instskip(NEXT) | instid1(VALU_DEP_1)
	v_or_b32_e32 v34, v34, v151
	v_lshlrev_b32_e32 v34, 3, v34
	s_delay_alu instid0(VALU_DEP_1)
	v_add3_u32 v34, 0, v34, v148
	ds_store_2addr_b64 v34, v[68:69], v[70:71] offset0:28 offset1:30
	ds_store_2addr_b64 v34, v[18:19], v[22:23] offset0:4 offset1:6
	;; [unrolled: 1-line block ×7, first 2 shown]
	ds_store_2addr_b64 v34, v[16:17], v[24:25] offset1:2
	ds_store_b64 v34, v[0:1] offset:256
.LBB0_28:
	s_or_b32 exec_lo, exec_lo, s33
	v_add_nc_u32_e32 v14, 0xc00, v153
	v_add_nc_u32_e32 v15, 0x1000, v153
	;; [unrolled: 1-line block ×3, first 2 shown]
	global_wb scope:SCOPE_SE
	s_wait_dscnt 0x0
	s_barrier_signal -1
	s_barrier_wait -1
	global_inv scope:SCOPE_SE
	ds_load_b64 v[0:1], v136
	ds_load_2addr_b64 v[18:21], v14 offset0:126 offset1:194
	ds_load_b64 v[62:63], v137
	ds_load_2addr_b64 v[22:25], v15 offset0:134 offset1:202
	ds_load_2addr_b64 v[14:17], v16 offset0:14 offset1:82
	ds_load_b64 v[64:65], v154
	ds_load_b64 v[76:77], v155
	ds_load_b64 v[88:89], v156
	ds_load_b64 v[90:91], v157
	ds_load_b64 v[92:93], v152
	ds_load_b64 v[94:95], v153 offset:7344
	s_and_saveexec_b32 s1, s0
	s_cbranch_execz .LBB0_30
; %bb.29:
	ds_load_b64 v[68:69], v153 offset:3808
	ds_load_b64 v[70:71], v153 offset:7888
.LBB0_30:
	s_wait_alu 0xfffe
	s_or_b32 exec_lo, exec_lo, s1
	v_and_b32_e32 v26, 0xff, v143
	v_dual_mov_b32 v102, 0 :: v_dual_and_b32 v29, 0xffff, v144
	v_subrev_nc_u32_e32 v27, 34, v140
	v_and_b32_e32 v98, 0xff, v145
	s_delay_alu instid0(VALU_DEP_4)
	v_mul_lo_u16 v26, 0xf1, v26
	v_and_b32_e32 v28, 0xffff, v147
	v_mul_u32_u24_e32 v99, 0xf0f1, v29
	v_cndmask_b32_e64 v101, v27, v140, s0
	v_and_b32_e32 v30, 0xffff, v146
	v_lshrrev_b16 v124, 13, v26
	v_and_b32_e32 v31, 0xffff, v149
	v_mul_lo_u16 v32, 0xf1, v98
	v_mul_u32_u24_e32 v100, 0xf0f1, v28
	v_lshlrev_b64_e32 v[26:27], 4, v[101:102]
	v_mul_lo_u16 v29, v124, 34
	v_mul_u32_u24_e32 v28, 0xf0f1, v30
	v_mul_u32_u24_e32 v30, 0xf0f1, v31
	v_lshrrev_b16 v125, 13, v32
	v_lshrrev_b32_e32 v126, 21, v100
	v_sub_nc_u16 v29, v143, v29
	v_lshrrev_b32_e32 v127, 21, v99
	v_add_co_u32 v26, s1, s4, v26
	v_lshrrev_b32_e32 v128, 21, v28
	s_delay_alu instid0(VALU_DEP_4)
	v_and_b32_e32 v130, 0xff, v29
	v_lshrrev_b32_e32 v129, 21, v30
	s_wait_alu 0xf1ff
	v_add_co_ci_u32_e64 v27, s1, s5, v27, s1
	v_mul_lo_u16 v28, v125, 34
	v_lshlrev_b32_e32 v29, 4, v130
	v_mul_lo_u16 v38, v126, 34
	v_mul_lo_u16 v39, v127, 34
	;; [unrolled: 1-line block ×3, first 2 shown]
	s_clause 0x1
	global_load_b128 v[30:33], v[26:27], off offset:512
	global_load_b128 v[34:37], v29, s[4:5] offset:512
	v_mul_lo_u16 v26, v129, 34
	v_sub_nc_u16 v27, v145, v28
	v_sub_nc_u16 v28, v147, v38
	;; [unrolled: 1-line block ×5, first 2 shown]
	v_and_b32_e32 v131, 0xff, v27
	v_and_b32_e32 v132, 0xffff, v28
	;; [unrolled: 1-line block ×5, first 2 shown]
	v_lshlrev_b32_e32 v26, 4, v131
	v_lshlrev_b32_e32 v27, 4, v132
	;; [unrolled: 1-line block ×5, first 2 shown]
	s_clause 0x4
	global_load_b128 v[38:41], v26, s[4:5] offset:512
	global_load_b128 v[42:45], v27, s[4:5] offset:512
	;; [unrolled: 1-line block ×5, first 2 shown]
	v_and_b32_e32 v26, 0xffff, v150
	v_cmp_lt_u32_e64 s1, 33, v140
	s_delay_alu instid0(VALU_DEP_2) | instskip(SKIP_1) | instid1(VALU_DEP_2)
	v_mul_u32_u24_e32 v26, 0xf0f1, v26
	s_wait_alu 0xf1ff
	v_cndmask_b32_e64 v116, 0, 0x220, s1
	s_delay_alu instid0(VALU_DEP_2) | instskip(NEXT) | instid1(VALU_DEP_2)
	v_lshrrev_b32_e32 v26, 21, v26
	v_add_nc_u32_e32 v149, 0, v116
	s_delay_alu instid0(VALU_DEP_2) | instskip(NEXT) | instid1(VALU_DEP_1)
	v_mul_lo_u16 v26, v26, 34
	v_sub_nc_u16 v26, v150, v26
	s_delay_alu instid0(VALU_DEP_1) | instskip(NEXT) | instid1(VALU_DEP_1)
	v_and_b32_e32 v146, 0xffff, v26
	v_lshlrev_b32_e32 v26, 4, v146
	global_load_b128 v[26:29], v26, s[4:5] offset:512
	global_wb scope:SCOPE_SE
	s_wait_loadcnt_dscnt 0x0
	s_barrier_signal -1
	s_barrier_wait -1
	global_inv scope:SCOPE_SE
	v_mul_f64_e32 v[102:103], v[18:19], v[32:33]
	v_mul_f64_e32 v[104:105], v[20:21], v[36:37]
	;; [unrolled: 1-line block ×7, first 2 shown]
	v_fma_f64 v[102:103], v[6:7], v[30:31], -v[102:103]
	v_fma_f64 v[104:105], v[8:9], v[34:35], -v[104:105]
	;; [unrolled: 1-line block ×7, first 2 shown]
	v_add_f64_e64 v[102:103], v[72:73], -v[102:103]
	v_add_f64_e64 v[104:105], v[86:87], -v[104:105]
	v_add_f64_e64 v[106:107], v[74:75], -v[106:107]
	v_add_f64_e64 v[108:109], v[78:79], -v[108:109]
	v_add_f64_e64 v[110:111], v[80:81], -v[110:111]
	v_add_f64_e64 v[112:113], v[82:83], -v[112:113]
	v_add_f64_e64 v[114:115], v[84:85], -v[114:115]
	v_fma_f64 v[116:117], v[72:73], 2.0, -v[102:103]
	v_fma_f64 v[86:87], v[86:87], 2.0, -v[104:105]
	v_and_b32_e32 v73, 0xffff, v124
	v_lshlrev_b32_e32 v72, 3, v101
	v_lshlrev_b32_e32 v124, 3, v131
	s_delay_alu instid0(VALU_DEP_2)
	v_add3_u32 v72, v149, v72, v148
	v_fma_f64 v[118:119], v[74:75], 2.0, -v[106:107]
	v_fma_f64 v[120:121], v[78:79], 2.0, -v[108:109]
	;; [unrolled: 1-line block ×5, first 2 shown]
	v_and_b32_e32 v74, 0xffff, v125
	v_mad_u32_u24 v78, 0x220, v126, 0
	v_mad_u32_u24 v79, 0x220, v127, 0
	;; [unrolled: 1-line block ×6, first 2 shown]
	v_lshlrev_b32_e32 v74, 3, v130
	v_lshlrev_b32_e32 v125, 3, v132
	;; [unrolled: 1-line block ×6, first 2 shown]
	v_add3_u32 v74, v75, v74, v148
	v_add3_u32 v75, v101, v124, v148
	;; [unrolled: 1-line block ×6, first 2 shown]
	ds_store_2addr_b64 v72, v[116:117], v[102:103] offset1:34
	ds_store_2addr_b64 v74, v[86:87], v[104:105] offset1:34
	;; [unrolled: 1-line block ×7, first 2 shown]
	s_and_saveexec_b32 s1, s0
	s_cbranch_execz .LBB0_32
; %bb.31:
	v_mul_f64_e32 v[82:83], v[70:71], v[28:29]
	v_add3_u32 v84, 0, v73, v148
	s_delay_alu instid0(VALU_DEP_1) | instskip(NEXT) | instid1(VALU_DEP_3)
	v_add_nc_u32_e32 v84, 0x1800, v84
	v_fma_f64 v[82:83], v[58:59], v[26:27], -v[82:83]
	s_delay_alu instid0(VALU_DEP_1) | instskip(NEXT) | instid1(VALU_DEP_1)
	v_add_f64_e64 v[82:83], v[60:61], -v[82:83]
	v_fma_f64 v[60:61], v[60:61], 2.0, -v[82:83]
	ds_store_2addr_b64 v84, v[60:61], v[82:83] offset0:184 offset1:218
.LBB0_32:
	s_wait_alu 0xfffe
	s_or_b32 exec_lo, exec_lo, s1
	v_mul_f64_e32 v[6:7], v[6:7], v[32:33]
	v_mul_f64_e32 v[8:9], v[8:9], v[36:37]
	;; [unrolled: 1-line block ×7, first 2 shown]
	v_add_nc_u32_e32 v36, 0x1000, v153
	v_add_nc_u32_e32 v37, 0xc00, v153
	global_wb scope:SCOPE_SE
	s_wait_dscnt 0x0
	s_barrier_signal -1
	s_barrier_wait -1
	global_inv scope:SCOPE_SE
	v_fma_f64 v[6:7], v[18:19], v[30:31], v[6:7]
	v_fma_f64 v[8:9], v[20:21], v[34:35], v[8:9]
	;; [unrolled: 1-line block ×7, first 2 shown]
	v_add_nc_u32_e32 v38, 0x1400, v153
	ds_load_b64 v[32:33], v157
	ds_load_b64 v[20:21], v136
	;; [unrolled: 1-line block ×5, first 2 shown]
	v_add_nc_u32_e32 v39, 0x1800, v153
	v_lshlrev_b32_e32 v30, 1, v140
	v_add_f64_e64 v[40:41], v[0:1], -v[6:7]
	v_add_f64_e64 v[42:43], v[92:93], -v[8:9]
	;; [unrolled: 1-line block ×7, first 2 shown]
	v_fma_f64 v[54:55], v[0:1], 2.0, -v[40:41]
	v_fma_f64 v[56:57], v[92:93], 2.0, -v[42:43]
	;; [unrolled: 1-line block ×7, first 2 shown]
	ds_load_b64 v[34:35], v156
	ds_load_b64 v[24:25], v155
	ds_load_2addr_b64 v[8:11], v36 offset0:100 offset1:168
	ds_load_2addr_b64 v[0:3], v38 offset0:108 offset1:176
	;; [unrolled: 1-line block ×4, first 2 shown]
	global_wb scope:SCOPE_SE
	s_wait_dscnt 0x0
	s_barrier_signal -1
	s_barrier_wait -1
	global_inv scope:SCOPE_SE
	ds_store_2addr_b64 v72, v[54:55], v[40:41] offset1:34
	ds_store_2addr_b64 v74, v[56:57], v[42:43] offset1:34
	;; [unrolled: 1-line block ×7, first 2 shown]
	s_and_saveexec_b32 s1, s0
	s_cbranch_execz .LBB0_34
; %bb.33:
	v_mul_f64_e32 v[28:29], v[58:59], v[28:29]
	v_add3_u32 v31, 0, v73, v148
	s_delay_alu instid0(VALU_DEP_1) | instskip(NEXT) | instid1(VALU_DEP_3)
	v_add_nc_u32_e32 v31, 0x1800, v31
	v_fma_f64 v[26:27], v[70:71], v[26:27], v[28:29]
	s_delay_alu instid0(VALU_DEP_1) | instskip(NEXT) | instid1(VALU_DEP_1)
	v_add_f64_e64 v[26:27], v[68:69], -v[26:27]
	v_fma_f64 v[28:29], v[68:69], 2.0, -v[26:27]
	ds_store_2addr_b64 v31, v[28:29], v[26:27] offset0:184 offset1:218
.LBB0_34:
	s_wait_alu 0xfffe
	s_or_b32 exec_lo, exec_lo, s1
	v_lshrrev_b32_e32 v27, 22, v100
	v_mul_lo_u16 v26, 0x79, v98
	v_lshrrev_b32_e32 v28, 22, v99
	global_wb scope:SCOPE_SE
	s_wait_dscnt 0x0
	s_barrier_signal -1
	v_mul_lo_u16 v27, 0x44, v27
	v_lshrrev_b16 v26, 13, v26
	v_mul_lo_u16 v28, 0x44, v28
	s_barrier_wait -1
	global_inv scope:SCOPE_SE
	v_sub_nc_u16 v40, v147, v27
	v_mov_b32_e32 v31, 0
	v_mul_lo_u16 v29, 0x44, v26
	v_sub_nc_u16 v28, v144, v28
	s_mov_b32 s3, 0xbfebb67a
	s_delay_alu instid0(VALU_DEP_3) | instskip(SKIP_3) | instid1(VALU_DEP_3)
	v_lshlrev_b64_e32 v[26:27], 4, v[30:31]
	v_and_b32_e32 v30, 0xffff, v40
	v_sub_nc_u16 v29, v145, v29
	v_and_b32_e32 v116, 0xffff, v28
	v_lshlrev_b32_e32 v48, 5, v30
	v_add_co_u32 v40, s0, s4, v26
	s_wait_alu 0xf1ff
	v_add_co_ci_u32_e64 v41, s0, s5, v27, s0
	v_and_b32_e32 v117, 0xff, v29
	s_clause 0x1
	global_load_b128 v[26:29], v[40:41], off offset:1072
	global_load_b128 v[40:43], v[40:41], off offset:1056
	v_lshlrev_b32_e32 v56, 5, v116
	v_lshlrev_b32_e32 v64, 5, v117
	s_clause 0x5
	global_load_b128 v[44:47], v48, s[4:5] offset:1056
	global_load_b128 v[48:51], v48, s[4:5] offset:1072
	global_load_b128 v[52:55], v56, s[4:5] offset:1056
	global_load_b128 v[56:59], v56, s[4:5] offset:1072
	global_load_b128 v[60:63], v64, s[4:5] offset:1056
	global_load_b128 v[64:67], v64, s[4:5] offset:1072
	ds_load_b64 v[84:85], v156
	ds_load_2addr_b64 v[68:71], v36 offset0:100 offset1:168
	ds_load_b64 v[86:87], v157
	ds_load_2addr_b64 v[72:75], v38 offset0:108 offset1:176
	ds_load_2addr_b64 v[76:79], v37 offset0:92 offset1:160
	;; [unrolled: 1-line block ×3, first 2 shown]
	ds_load_b64 v[88:89], v155
	s_mov_b32 s0, 0xe8584caa
	s_mov_b32 s1, 0x3febb67a
	s_wait_alu 0xfffe
	s_mov_b32 s2, s0
	v_lshlrev_b32_e32 v30, 3, v30
	s_delay_alu instid0(VALU_DEP_1)
	v_add3_u32 v30, 0, v30, v148
	s_wait_loadcnt_dscnt 0x502
	v_mul_f64_e32 v[100:101], v[78:79], v[46:47]
	v_mul_f64_e32 v[90:91], v[84:85], v[42:43]
	;; [unrolled: 1-line block ×5, first 2 shown]
	s_wait_loadcnt_dscnt 0x401
	v_mul_f64_e32 v[102:103], v[80:81], v[50:51]
	s_wait_loadcnt 0x3
	v_mul_f64_e32 v[104:105], v[68:69], v[54:55]
	s_wait_loadcnt 0x2
	;; [unrolled: 2-line block ×4, first 2 shown]
	v_mul_f64_e32 v[110:111], v[74:75], v[66:67]
	v_mul_f64_e32 v[112:113], v[34:35], v[42:43]
	v_mul_f64_e32 v[114:115], v[10:11], v[28:29]
	v_mul_f64_e32 v[42:43], v[32:33], v[42:43]
	v_mul_f64_e32 v[28:29], v[0:1], v[28:29]
	v_mul_f64_e32 v[46:47], v[6:7], v[46:47]
	v_mul_f64_e32 v[62:63], v[4:5], v[62:63]
	v_mul_f64_e32 v[66:67], v[2:3], v[66:67]
	v_mul_f64_e32 v[50:51], v[12:13], v[50:51]
	v_mul_f64_e32 v[54:55], v[8:9], v[54:55]
	v_mul_f64_e32 v[58:59], v[14:15], v[58:59]
	v_fma_f64 v[6:7], v[6:7], v[44:45], -v[100:101]
	v_fma_f64 v[34:35], v[34:35], v[40:41], -v[90:91]
	v_fma_f64 v[10:11], v[10:11], v[26:27], -v[92:93]
	v_fma_f64 v[32:33], v[32:33], v[40:41], -v[94:95]
	v_fma_f64 v[0:1], v[0:1], v[26:27], -v[98:99]
	v_fma_f64 v[12:13], v[12:13], v[48:49], -v[102:103]
	v_fma_f64 v[8:9], v[8:9], v[52:53], -v[104:105]
	v_fma_f64 v[14:15], v[14:15], v[56:57], -v[106:107]
	v_fma_f64 v[4:5], v[4:5], v[60:61], -v[108:109]
	v_fma_f64 v[2:3], v[2:3], v[64:65], -v[110:111]
	v_fma_f64 v[84:85], v[84:85], v[40:41], v[112:113]
	v_fma_f64 v[70:71], v[70:71], v[26:27], v[114:115]
	;; [unrolled: 1-line block ×10, first 2 shown]
	ds_load_b64 v[62:63], v136
	ds_load_b64 v[64:65], v152
	;; [unrolled: 1-line block ×4, first 2 shown]
	global_wb scope:SCOPE_SE
	s_wait_dscnt 0x0
	s_barrier_signal -1
	s_barrier_wait -1
	global_inv scope:SCOPE_SE
	v_add_f64_e32 v[86:87], v[22:23], v[6:7]
	v_add_f64_e32 v[72:73], v[20:21], v[34:35]
	;; [unrolled: 1-line block ×10, first 2 shown]
	v_add_f64_e64 v[34:35], v[34:35], -v[10:11]
	v_add_f64_e32 v[76:77], v[84:85], v[70:71]
	v_add_f64_e64 v[74:75], v[84:85], -v[70:71]
	v_add_f64_e32 v[82:83], v[40:41], v[26:27]
	;; [unrolled: 2-line block ×3, first 2 shown]
	v_add_f64_e32 v[94:95], v[44:45], v[46:47]
	v_add_f64_e32 v[92:93], v[28:29], v[42:43]
	v_add_f64_e64 v[90:91], v[28:29], -v[42:43]
	v_add_f64_e32 v[100:101], v[48:49], v[50:51]
	v_add_f64_e64 v[32:33], v[32:33], -v[0:1]
	v_add_f64_e64 v[4:5], v[4:5], -v[2:3]
	v_add_f64_e32 v[28:29], v[68:69], v[28:29]
	v_add_f64_e64 v[6:7], v[6:7], -v[12:13]
	v_add_f64_e64 v[8:9], v[8:9], -v[14:15]
	v_add_f64_e32 v[12:13], v[86:87], v[12:13]
	v_add_f64_e32 v[10:11], v[72:73], v[10:11]
	v_fma_f64 v[20:21], v[52:53], -0.5, v[20:21]
	v_add_f64_e64 v[52:53], v[48:49], -v[50:51]
	v_fma_f64 v[18:19], v[54:55], -0.5, v[18:19]
	v_fma_f64 v[22:23], v[56:57], -0.5, v[22:23]
	v_add_f64_e64 v[54:55], v[44:45], -v[46:47]
	v_fma_f64 v[24:25], v[58:59], -0.5, v[24:25]
	v_add_f64_e32 v[56:57], v[62:63], v[84:85]
	v_fma_f64 v[16:17], v[60:61], -0.5, v[16:17]
	v_add_f64_e32 v[44:45], v[66:67], v[44:45]
	v_fma_f64 v[58:59], v[76:77], -0.5, v[62:63]
	v_add_f64_e32 v[48:49], v[88:89], v[48:49]
	v_fma_f64 v[60:61], v[82:83], -0.5, v[64:65]
	v_add_f64_e32 v[0:1], v[78:79], v[0:1]
	v_add_f64_e32 v[14:15], v[98:99], v[14:15]
	v_fma_f64 v[64:65], v[94:95], -0.5, v[66:67]
	v_fma_f64 v[62:63], v[92:93], -0.5, v[68:69]
	v_add_f64_e32 v[2:3], v[102:103], v[2:3]
	v_fma_f64 v[66:67], v[100:101], -0.5, v[88:89]
	v_add_f64_e32 v[40:41], v[40:41], v[26:27]
	v_add_nc_u32_e32 v83, 0x1000, v30
	v_add_f64_e32 v[42:43], v[28:29], v[42:43]
	v_fma_f64 v[68:69], v[74:75], s[0:1], v[20:21]
	s_wait_alu 0xfffe
	v_fma_f64 v[20:21], v[74:75], s[2:3], v[20:21]
	v_fma_f64 v[72:73], v[80:81], s[0:1], v[18:19]
	;; [unrolled: 1-line block ×9, first 2 shown]
	v_lshlrev_b32_e32 v52, 3, v116
	v_lshlrev_b32_e32 v53, 3, v117
	v_add_f64_e32 v[44:45], v[44:45], v[46:47]
	v_fma_f64 v[46:47], v[34:35], s[2:3], v[58:59]
	v_fma_f64 v[34:35], v[34:35], s[0:1], v[58:59]
	v_add3_u32 v81, 0, v52, v148
	v_add3_u32 v82, 0, v53, v148
	v_add_f64_e32 v[52:53], v[56:57], v[70:71]
	v_add_f64_e32 v[48:49], v[48:49], v[50:51]
	v_fma_f64 v[50:51], v[32:33], s[2:3], v[60:61]
	v_fma_f64 v[32:33], v[32:33], s[0:1], v[60:61]
	;; [unrolled: 1-line block ×5, first 2 shown]
	v_add_nc_u32_e32 v80, 0x800, v153
	v_fma_f64 v[58:59], v[6:7], s[0:1], v[62:63]
	v_fma_f64 v[62:63], v[4:5], s[0:1], v[64:65]
	v_add_nc_u32_e32 v84, 0x1800, v81
	v_fma_f64 v[64:65], v[8:9], s[0:1], v[66:67]
	v_add_nc_u32_e32 v85, 0x800, v82
	ds_store_2addr_b64 v153, v[10:11], v[68:69] offset1:68
	ds_store_2addr_b64 v153, v[20:21], v[0:1] offset0:136 offset1:204
	ds_store_2addr_b64 v80, v[72:73], v[18:19] offset0:16 offset1:84
	;; [unrolled: 1-line block ×5, first 2 shown]
	ds_store_b64 v82, v[16:17] offset:4352
	ds_store_b64 v30, v[22:23] offset:5984
	;; [unrolled: 1-line block ×3, first 2 shown]
	global_wb scope:SCOPE_SE
	s_wait_dscnt 0x0
	s_barrier_signal -1
	s_barrier_wait -1
	global_inv scope:SCOPE_SE
	ds_load_2addr_b64 v[0:3], v36 offset0:100 offset1:168
	ds_load_2addr_b64 v[4:7], v38 offset0:108 offset1:176
	ds_load_b64 v[20:21], v136
	ds_load_b64 v[16:17], v152
	;; [unrolled: 1-line block ×3, first 2 shown]
	ds_load_2addr_b64 v[12:15], v37 offset0:92 offset1:160
	ds_load_2addr_b64 v[8:11], v39 offset0:116 offset1:184
	ds_load_b64 v[24:25], v154
	ds_load_b64 v[18:19], v137
	;; [unrolled: 1-line block ×4, first 2 shown]
	global_wb scope:SCOPE_SE
	s_wait_dscnt 0x0
	s_barrier_signal -1
	s_barrier_wait -1
	global_inv scope:SCOPE_SE
	ds_store_2addr_b64 v153, v[52:53], v[46:47] offset1:68
	ds_store_2addr_b64 v153, v[34:35], v[40:41] offset0:136 offset1:204
	ds_store_2addr_b64 v80, v[50:51], v[32:33] offset0:16 offset1:84
	;; [unrolled: 1-line block ×5, first 2 shown]
	ds_store_b64 v82, v[62:63] offset:4352
	ds_store_b64 v30, v[58:59] offset:5984
	ds_store_b64 v81, v[64:65] offset:7616
	global_wb scope:SCOPE_SE
	s_wait_dscnt 0x0
	s_barrier_signal -1
	s_barrier_wait -1
	global_inv scope:SCOPE_SE
	s_and_saveexec_b32 s0, vcc_lo
	s_cbranch_execz .LBB0_36
; %bb.35:
	v_add_nc_u32_e32 v124, 0x264, v140
	v_add_nc_u32_e32 v125, 0x330, v140
	v_mad_co_u64_u32 v[112:113], null, s8, v140, 0
	v_mad_co_u64_u32 v[114:115], null, s8, v142, 0
	s_delay_alu instid0(VALU_DEP_4) | instskip(SKIP_4) | instid1(VALU_DEP_4)
	v_mad_co_u64_u32 v[116:117], null, s8, v124, 0
	v_lshlrev_b32_e32 v30, 2, v145
	v_mul_hi_u32 v120, 0xa0a0a0a1, v138
	v_mul_hi_u32 v121, 0xa0a0a0a1, v139
	v_mad_co_u64_u32 v[118:119], null, s8, v125, 0
	v_lshlrev_b64_e32 v[32:33], 4, v[30:31]
	v_lshlrev_b32_e32 v30, 2, v143
	s_mov_b32 s6, 0x134454ff
	s_mov_b32 s7, 0xbfee6f0e
	v_lshrrev_b32_e32 v126, 7, v120
	v_lshrrev_b32_e32 v127, 7, v121
	v_mad_co_u64_u32 v[120:121], null, s9, v140, v[113:114]
	v_mov_b32_e32 v113, v119
	v_lshlrev_b64_e32 v[48:49], 4, v[30:31]
	v_lshlrev_b32_e32 v30, 2, v140
	v_add_co_u32 v44, vcc_lo, s4, v32
	s_wait_alu 0xfffd
	v_add_co_ci_u32_e32 v45, vcc_lo, s5, v33, vcc_lo
	s_delay_alu instid0(VALU_DEP_3)
	v_lshlrev_b64_e32 v[30:31], 4, v[30:31]
	v_add_co_u32 v60, vcc_lo, s4, v48
	s_wait_alu 0xfffd
	v_add_co_ci_u32_e32 v61, vcc_lo, s5, v49, vcc_lo
	s_clause 0x3
	global_load_b128 v[32:35], v[44:45], off offset:3280
	global_load_b128 v[36:39], v[44:45], off offset:3264
	;; [unrolled: 1-line block ×4, first 2 shown]
	v_add_co_u32 v30, vcc_lo, s4, v30
	s_wait_alu 0xfffd
	v_add_co_ci_u32_e32 v31, vcc_lo, s5, v31, vcc_lo
	s_clause 0x7
	global_load_b128 v[48:51], v[60:61], off offset:3248
	global_load_b128 v[52:55], v[60:61], off offset:3232
	;; [unrolled: 1-line block ×8, first 2 shown]
	ds_load_b64 v[98:99], v157
	ds_load_b64 v[100:101], v156
	;; [unrolled: 1-line block ×3, first 2 shown]
	v_add_co_u32 v30, vcc_lo, s10, v96
	s_wait_alu 0xfffd
	v_add_co_ci_u32_e32 v31, vcc_lo, s11, v97, vcc_lo
	v_mad_co_u64_u32 v[96:97], null, s8, v141, 0
	v_mad_u32_u24 v143, 0x330, v126, v138
	v_mad_u32_u24 v145, 0x330, v127, v139
	ds_load_b64 v[104:105], v154
	ds_load_b64 v[106:107], v137
	;; [unrolled: 1-line block ×4, first 2 shown]
	s_mov_b32 s13, 0x3fee6f0e
	s_wait_alu 0xfffe
	s_mov_b32 s12, s6
	v_add_nc_u32_e32 v148, 0x264, v143
	v_mad_co_u64_u32 v[127:128], null, s8, v145, 0
	v_add_nc_u32_e32 v150, 0xcc, v145
	v_add_nc_u32_e32 v147, 0x198, v143
	s_delay_alu instid0(VALU_DEP_4)
	v_mad_co_u64_u32 v[131:132], null, s8, v148, 0
	s_wait_dscnt 0x6
	v_mad_co_u64_u32 v[121:122], null, s9, v141, v[97:98]
	v_mov_b32_e32 v97, v117
	v_mad_co_u64_u32 v[122:123], null, s9, v142, v[115:116]
	v_add_nc_u32_e32 v149, 0x330, v143
	v_mad_co_u64_u32 v[135:136], null, s8, v150, 0
	s_delay_alu instid0(VALU_DEP_4)
	v_mad_co_u64_u32 v[123:124], null, s9, v124, v[97:98]
	v_mad_co_u64_u32 v[124:125], null, s9, v125, v[113:114]
	;; [unrolled: 1-line block ×3, first 2 shown]
	v_add_nc_u32_e32 v92, 0x1000, v153
	v_dual_mov_b32 v115, v122 :: v_dual_add_nc_u32 v84, 0x1400, v153
	v_dual_mov_b32 v117, v123 :: v_dual_add_nc_u32 v88, 0x1800, v153
	v_dual_mov_b32 v119, v124 :: v_dual_mov_b32 v124, v132
	v_mad_co_u64_u32 v[133:134], null, s8, v149, 0
	v_dual_mov_b32 v122, v126 :: v_dual_add_nc_u32 v151, 0x198, v145
	v_dual_mov_b32 v123, v128 :: v_dual_add_nc_u32 v80, 0xc00, v153
	;; [unrolled: 1-line block ×3, first 2 shown]
	v_mad_co_u64_u32 v[129:130], null, s8, v147, 0
	v_mov_b32_e32 v126, v134
	v_mad_co_u64_u32 v[137:138], null, s8, v151, 0
	v_mad_co_u64_u32 v[143:144], null, s9, v143, v[122:123]
	ds_load_2addr_b64 v[80:83], v80 offset0:92 offset1:160
	ds_load_2addr_b64 v[84:87], v84 offset0:108 offset1:176
	;; [unrolled: 1-line block ×4, first 2 shown]
	v_add_nc_u32_e32 v152, 0x264, v145
	v_add_nc_u32_e32 v153, 0x330, v145
	v_dual_mov_b32 v113, v120 :: v_dual_mov_b32 v128, v138
	v_mad_co_u64_u32 v[144:145], null, s9, v145, v[123:124]
	v_mov_b32_e32 v123, v136
	v_mad_co_u64_u32 v[120:121], null, s8, v146, 0
	v_mov_b32_e32 v122, v130
	v_mad_co_u64_u32 v[139:140], null, s8, v152, 0
	v_mad_co_u64_u32 v[141:142], null, s8, v153, 0
	v_lshlrev_b64_e32 v[112:113], 4, v[112:113]
	s_delay_alu instid0(VALU_DEP_4)
	v_mad_co_u64_u32 v[145:146], null, s9, v146, v[121:122]
	v_mad_co_u64_u32 v[146:147], null, s9, v147, v[122:123]
	v_mov_b32_e32 v130, v140
	v_mov_b32_e32 v132, v142
	v_mad_co_u64_u32 v[122:123], null, s9, v150, v[123:124]
	v_mov_b32_e32 v121, v145
	v_mad_co_u64_u32 v[147:148], null, s9, v148, v[124:125]
	v_mad_co_u64_u32 v[148:149], null, s9, v149, v[126:127]
	v_mad_co_u64_u32 v[149:150], null, s9, v152, v[130:131]
	v_mad_co_u64_u32 v[123:124], null, s9, v151, v[128:129]
	v_mad_co_u64_u32 v[150:151], null, s9, v153, v[132:133]
	v_lshlrev_b64_e32 v[96:97], 4, v[96:97]
	v_lshlrev_b64_e32 v[114:115], 4, v[114:115]
	v_add_co_u32 v112, vcc_lo, v30, v112
	s_wait_alu 0xfffd
	v_add_co_ci_u32_e32 v113, vcc_lo, v31, v113, vcc_lo
	v_lshlrev_b64_e32 v[116:117], 4, v[116:117]
	v_add_co_u32 v96, vcc_lo, v30, v96
	v_mov_b32_e32 v126, v143
	s_wait_alu 0xfffd
	v_add_co_ci_u32_e32 v97, vcc_lo, v31, v97, vcc_lo
	v_lshlrev_b64_e32 v[118:119], 4, v[118:119]
	v_add_co_u32 v114, vcc_lo, v30, v114
	v_mov_b32_e32 v128, v144
	s_wait_alu 0xfffd
	v_add_co_ci_u32_e32 v115, vcc_lo, v31, v115, vcc_lo
	v_add_co_u32 v116, vcc_lo, v30, v116
	v_lshlrev_b64_e32 v[124:125], 4, v[125:126]
	s_wait_alu 0xfffd
	v_add_co_ci_u32_e32 v117, vcc_lo, v31, v117, vcc_lo
	v_add_co_u32 v118, vcc_lo, v30, v118
	s_wait_alu 0xfffd
	v_add_co_ci_u32_e32 v119, vcc_lo, v31, v119, vcc_lo
	v_mov_b32_e32 v132, v147
	v_mov_b32_e32 v134, v148
	;; [unrolled: 1-line block ×7, first 2 shown]
	s_mov_b32 s2, 0x4755a5e
	s_mov_b32 s3, 0x3fe2cf23
	s_mov_b32 s5, 0xbfe2cf23
	s_wait_alu 0xfffe
	s_mov_b32 s4, s2
	s_mov_b32 s0, 0x372fe950
	;; [unrolled: 1-line block ×3, first 2 shown]
	s_wait_loadcnt 0xb
	v_mul_f64_e32 v[157:158], v[10:11], v[34:35]
	s_wait_loadcnt 0xa
	v_mul_f64_e32 v[155:156], v[4:5], v[38:39]
	;; [unrolled: 2-line block ×4, first 2 shown]
	s_wait_dscnt 0x9
	v_mul_f64_e32 v[46:47], v[100:101], v[46:47]
	s_wait_dscnt 0x1
	v_mul_f64_e32 v[34:35], v[90:91], v[34:35]
	v_mul_f64_e32 v[42:43], v[82:83], v[42:43]
	;; [unrolled: 1-line block ×3, first 2 shown]
	s_wait_loadcnt 0x7
	v_mul_f64_e32 v[159:160], v[12:13], v[50:51]
	s_wait_loadcnt 0x6
	v_mul_f64_e32 v[161:162], v[22:23], v[54:55]
	;; [unrolled: 2-line block ×8, first 2 shown]
	v_mul_f64_e32 v[66:67], v[98:99], v[66:67]
	s_wait_dscnt 0x0
	v_mul_f64_e32 v[78:79], v[92:93], v[78:79]
	v_mul_f64_e32 v[70:71], v[104:105], v[70:71]
	;; [unrolled: 1-line block ×7, first 2 shown]
	v_fma_f64 v[90:91], v[90:91], v[32:33], v[157:158]
	v_fma_f64 v[84:85], v[84:85], v[36:37], v[155:156]
	v_fma_f64 v[82:83], v[82:83], v[40:41], v[151:152]
	v_fma_f64 v[100:101], v[100:101], v[44:45], v[153:154]
	v_fma_f64 v[28:29], v[28:29], v[44:45], -v[46:47]
	v_fma_f64 v[10:11], v[10:11], v[32:33], -v[34:35]
	;; [unrolled: 1-line block ×4, first 2 shown]
	v_fma_f64 v[32:33], v[80:81], v[48:49], v[159:160]
	v_fma_f64 v[34:35], v[102:103], v[52:53], v[161:162]
	;; [unrolled: 1-line block ×8, first 2 shown]
	v_fma_f64 v[26:27], v[26:27], v[64:65], -v[66:67]
	v_fma_f64 v[0:1], v[0:1], v[76:77], -v[78:79]
	;; [unrolled: 1-line block ×8, first 2 shown]
	v_lshlrev_b64_e32 v[6:7], 4, v[127:128]
	v_add_co_u32 v78, vcc_lo, v30, v124
	s_wait_alu 0xfffd
	v_add_co_ci_u32_e32 v79, vcc_lo, v31, v125, vcc_lo
	v_lshlrev_b64_e32 v[66:67], 4, v[131:132]
	s_delay_alu instid0(VALU_DEP_4)
	v_add_co_u32 v80, vcc_lo, v30, v6
	s_wait_alu 0xfffd
	v_add_co_ci_u32_e32 v81, vcc_lo, v31, v7, vcc_lo
	v_lshlrev_b64_e32 v[68:69], 4, v[133:134]
	v_lshlrev_b64_e32 v[70:71], 4, v[135:136]
	;; [unrolled: 1-line block ×6, first 2 shown]
	v_add_f64_e32 v[54:55], v[82:83], v[84:85]
	v_add_f64_e32 v[6:7], v[100:101], v[90:91]
	v_add_f64_e64 v[52:53], v[82:83], -v[100:101]
	v_add_f64_e32 v[132:133], v[28:29], v[10:11]
	v_add_f64_e64 v[60:61], v[28:29], -v[10:11]
	;; [unrolled: 2-line block ×3, first 2 shown]
	v_add_f64_e64 v[136:137], v[28:29], -v[14:15]
	v_add_f64_e32 v[62:63], v[32:33], v[36:37]
	v_add_f64_e32 v[58:59], v[34:35], v[38:39]
	;; [unrolled: 1-line block ×10, first 2 shown]
	v_add_f64_e64 v[56:57], v[84:85], -v[90:91]
	v_add_f64_e32 v[124:125], v[12:13], v[2:3]
	v_add_f64_e32 v[158:159], v[16:17], v[22:23]
	;; [unrolled: 1-line block ×3, first 2 shown]
	v_add_f64_e64 v[88:89], v[14:15], -v[4:5]
	v_add_f64_e64 v[94:95], v[100:101], -v[82:83]
	;; [unrolled: 1-line block ×3, first 2 shown]
	v_add_f64_e32 v[120:121], v[100:101], v[106:107]
	v_add_f64_e64 v[128:129], v[4:5], -v[10:11]
	v_add_f64_e64 v[138:139], v[10:11], -v[4:5]
	;; [unrolled: 1-line block ×5, first 2 shown]
	v_lshlrev_b64_e32 v[76:77], 4, v[141:142]
	v_add_f64_e64 v[140:141], v[32:33], -v[34:35]
	v_add_f64_e64 v[148:149], v[34:35], -v[32:33]
	;; [unrolled: 1-line block ×6, first 2 shown]
	v_fma_f64 v[54:55], v[54:55], -0.5, v[106:107]
	v_fma_f64 v[6:7], v[6:7], -0.5, v[106:107]
	v_add_f64_e64 v[106:107], v[24:25], -v[64:65]
	v_fma_f64 v[132:133], v[132:133], -0.5, v[18:19]
	v_add_f64_e64 v[154:155], v[12:13], -v[22:23]
	;; [unrolled: 2-line block ×3, first 2 shown]
	v_add_f64_e64 v[170:171], v[26:27], -v[24:25]
	v_fma_f64 v[62:63], v[62:63], -0.5, v[108:109]
	v_fma_f64 v[58:59], v[58:59], -0.5, v[108:109]
	v_add_f64_e64 v[108:109], v[40:41], -v[46:47]
	v_add_f64_e64 v[24:25], v[24:25], -v[26:27]
	v_fma_f64 v[86:87], v[86:87], -0.5, v[110:111]
	v_fma_f64 v[92:93], v[92:93], -0.5, v[110:111]
	v_add_f64_e64 v[110:111], v[42:43], -v[44:45]
	v_fma_f64 v[98:99], v[98:99], -0.5, v[20:21]
	v_add_f64_e32 v[14:15], v[14:15], v[28:29]
	v_fma_f64 v[20:21], v[102:103], -0.5, v[20:21]
	v_add_f64_e32 v[28:29], v[32:33], v[152:153]
	;; [unrolled: 2-line block ×4, first 2 shown]
	v_add_f64_e32 v[26:27], v[26:27], v[162:163]
	v_add_f64_e64 v[142:143], v[36:37], -v[38:39]
	v_add_f64_e64 v[150:151], v[38:39], -v[36:37]
	;; [unrolled: 1-line block ×7, first 2 shown]
	v_add_f64_e32 v[52:53], v[52:53], v[56:57]
	v_add_f64_e32 v[56:57], v[94:95], v[104:105]
	;; [unrolled: 1-line block ×5, first 2 shown]
	v_add_f64_e64 v[168:169], v[46:47], -v[44:45]
	v_add_f64_e64 v[172:173], v[0:1], -v[64:65]
	v_fma_f64 v[120:121], v[60:61], s[12:13], v[54:55]
	v_fma_f64 v[40:41], v[88:89], s[6:7], v[6:7]
	;; [unrolled: 1-line block ×4, first 2 shown]
	v_add_f64_e64 v[156:157], v[2:3], -v[8:9]
	v_fma_f64 v[178:179], v[100:101], s[12:13], v[18:19]
	v_fma_f64 v[176:177], v[130:131], s[12:13], v[132:133]
	;; [unrolled: 1-line block ×20, first 2 shown]
	v_add_f64_e32 v[4:5], v[14:15], v[4:5]
	v_add_f64_e32 v[14:15], v[36:37], v[28:29]
	;; [unrolled: 1-line block ×13, first 2 shown]
	v_fma_f64 v[32:33], v[60:61], s[2:3], v[40:41]
	v_fma_f64 v[40:41], v[88:89], s[2:3], v[120:121]
	s_wait_alu 0xfffe
	v_fma_f64 v[42:43], v[88:89], s[4:5], v[54:55]
	v_fma_f64 v[36:37], v[60:61], s[4:5], v[6:7]
	v_add_f64_e32 v[148:149], v[154:155], v[156:157]
	v_fma_f64 v[120:121], v[100:101], s[4:5], v[176:177]
	v_fma_f64 v[100:101], v[100:101], s[2:3], v[132:133]
	v_fma_f64 v[46:47], v[144:145], s[2:3], v[122:123]
	v_fma_f64 v[54:55], v[144:145], s[4:5], v[58:59]
	v_fma_f64 v[58:59], v[146:147], s[2:3], v[128:129]
	v_fma_f64 v[60:61], v[106:107], s[2:3], v[136:137]
	v_fma_f64 v[82:83], v[106:107], s[4:5], v[86:87]
	v_fma_f64 v[84:85], v[166:167], s[2:3], v[138:139]
	v_fma_f64 v[86:87], v[166:167], s[4:5], v[92:93]
	v_fma_f64 v[88:89], v[108:109], s[2:3], v[152:153]
	v_fma_f64 v[92:93], v[110:111], s[2:3], v[158:159]
	v_fma_f64 v[20:21], v[110:111], s[4:5], v[20:21]
	v_fma_f64 v[98:99], v[108:109], s[4:5], v[98:99]
	v_fma_f64 v[62:63], v[146:147], s[4:5], v[62:63]
	v_fma_f64 v[106:107], v[164:165], s[2:3], v[160:161]
	v_fma_f64 v[108:109], v[34:35], s[2:3], v[162:163]
	v_fma_f64 v[16:17], v[34:35], s[4:5], v[16:17]
	v_fma_f64 v[110:111], v[164:165], s[4:5], v[124:125]
	v_fma_f64 v[122:123], v[130:131], s[2:3], v[178:179]
	v_fma_f64 v[124:125], v[130:131], s[4:5], v[18:19]
	v_add_co_u32 v128, vcc_lo, v30, v48
	s_wait_alu 0xfffd
	v_add_co_ci_u32_e32 v129, vcc_lo, v31, v49, vcc_lo
	v_add_co_u32 v130, vcc_lo, v30, v50
	v_add_f64_e32 v[0:1], v[4:5], v[10:11]
	v_add_f64_e32 v[4:5], v[12:13], v[8:9]
	;; [unrolled: 1-line block ×5, first 2 shown]
	s_wait_alu 0xfffd
	v_add_co_ci_u32_e32 v131, vcc_lo, v31, v51, vcc_lo
	v_fma_f64 v[22:23], v[56:57], s[0:1], v[40:41]
	v_fma_f64 v[26:27], v[56:57], s[0:1], v[42:43]
	v_add_f64_e32 v[6:7], v[38:39], v[14:15]
	v_fma_f64 v[14:15], v[52:53], s[0:1], v[32:33]
	v_fma_f64 v[18:19], v[52:53], s[0:1], v[36:37]
	;; [unrolled: 1-line block ×3, first 2 shown]
	v_add_co_u32 v28, vcc_lo, v30, v66
	v_fma_f64 v[34:35], v[140:141], s[0:1], v[46:47]
	v_fma_f64 v[42:43], v[142:143], s[0:1], v[58:59]
	v_fma_f64 v[46:47], v[126:127], s[0:1], v[60:61]
	v_fma_f64 v[50:51], v[126:127], s[0:1], v[82:83]
	v_fma_f64 v[38:39], v[140:141], s[0:1], v[54:55]
	v_fma_f64 v[58:59], v[134:135], s[0:1], v[86:87]
	v_fma_f64 v[56:57], v[24:25], s[0:1], v[88:89]
	v_fma_f64 v[48:49], v[150:151], s[0:1], v[92:93]
	v_fma_f64 v[44:45], v[150:151], s[0:1], v[20:21]
	v_fma_f64 v[54:55], v[134:135], s[0:1], v[84:85]
	v_fma_f64 v[52:53], v[24:25], s[0:1], v[98:99]
	v_fma_f64 v[62:63], v[142:143], s[0:1], v[62:63]
	v_fma_f64 v[60:61], v[102:103], s[0:1], v[106:107]
	v_fma_f64 v[36:37], v[148:149], s[0:1], v[108:109]
	v_fma_f64 v[32:33], v[148:149], s[0:1], v[16:17]
	v_fma_f64 v[40:41], v[102:103], s[0:1], v[110:111]
	v_fma_f64 v[24:25], v[104:105], s[0:1], v[122:123]
	v_fma_f64 v[16:17], v[94:95], s[0:1], v[100:101]
	v_fma_f64 v[20:21], v[104:105], s[0:1], v[124:125]
	s_wait_alu 0xfffd
	v_add_co_ci_u32_e32 v29, vcc_lo, v31, v67, vcc_lo
	v_add_co_u32 v64, vcc_lo, v30, v68
	s_wait_alu 0xfffd
	v_add_co_ci_u32_e32 v65, vcc_lo, v31, v69, vcc_lo
	v_add_co_u32 v66, vcc_lo, v30, v70
	s_wait_alu 0xfffd
	v_add_co_ci_u32_e32 v67, vcc_lo, v31, v71, vcc_lo
	v_add_co_u32 v68, vcc_lo, v30, v72
	s_wait_alu 0xfffd
	v_add_co_ci_u32_e32 v69, vcc_lo, v31, v73, vcc_lo
	v_add_co_u32 v70, vcc_lo, v30, v74
	s_wait_alu 0xfffd
	v_add_co_ci_u32_e32 v71, vcc_lo, v31, v75, vcc_lo
	v_add_co_u32 v30, vcc_lo, v30, v76
	s_wait_alu 0xfffd
	v_add_co_ci_u32_e32 v31, vcc_lo, v31, v77, vcc_lo
	s_clause 0xe
	global_store_b128 v[112:113], v[8:11], off
	global_store_b128 v[96:97], v[56:59], off
	global_store_b128 v[114:115], v[48:51], off
	global_store_b128 v[116:117], v[44:47], off
	global_store_b128 v[118:119], v[52:55], off
	global_store_b128 v[78:79], v[4:7], off
	global_store_b128 v[128:129], v[60:63], off
	global_store_b128 v[130:131], v[36:39], off
	global_store_b128 v[28:29], v[32:35], off
	global_store_b128 v[64:65], v[40:43], off
	global_store_b128 v[80:81], v[0:3], off
	global_store_b128 v[66:67], v[24:27], off
	global_store_b128 v[68:69], v[16:19], off
	global_store_b128 v[70:71], v[12:15], off
	global_store_b128 v[30:31], v[20:23], off
.LBB0_36:
	s_nop 0
	s_sendmsg sendmsg(MSG_DEALLOC_VGPRS)
	s_endpgm
	.section	.rodata,"a",@progbits
	.p2align	6, 0x0
	.amdhsa_kernel fft_rtc_fwd_len1020_factors_2_17_2_3_5_wgs_204_tpt_68_halfLds_dp_ip_CI_sbrr_dirReg
		.amdhsa_group_segment_fixed_size 0
		.amdhsa_private_segment_fixed_size 0
		.amdhsa_kernarg_size 88
		.amdhsa_user_sgpr_count 2
		.amdhsa_user_sgpr_dispatch_ptr 0
		.amdhsa_user_sgpr_queue_ptr 0
		.amdhsa_user_sgpr_kernarg_segment_ptr 1
		.amdhsa_user_sgpr_dispatch_id 0
		.amdhsa_user_sgpr_private_segment_size 0
		.amdhsa_wavefront_size32 1
		.amdhsa_uses_dynamic_stack 0
		.amdhsa_enable_private_segment 0
		.amdhsa_system_sgpr_workgroup_id_x 1
		.amdhsa_system_sgpr_workgroup_id_y 0
		.amdhsa_system_sgpr_workgroup_id_z 0
		.amdhsa_system_sgpr_workgroup_info 0
		.amdhsa_system_vgpr_workitem_id 0
		.amdhsa_next_free_vgpr 233
		.amdhsa_next_free_sgpr 52
		.amdhsa_reserve_vcc 1
		.amdhsa_float_round_mode_32 0
		.amdhsa_float_round_mode_16_64 0
		.amdhsa_float_denorm_mode_32 3
		.amdhsa_float_denorm_mode_16_64 3
		.amdhsa_fp16_overflow 0
		.amdhsa_workgroup_processor_mode 1
		.amdhsa_memory_ordered 1
		.amdhsa_forward_progress 0
		.amdhsa_round_robin_scheduling 0
		.amdhsa_exception_fp_ieee_invalid_op 0
		.amdhsa_exception_fp_denorm_src 0
		.amdhsa_exception_fp_ieee_div_zero 0
		.amdhsa_exception_fp_ieee_overflow 0
		.amdhsa_exception_fp_ieee_underflow 0
		.amdhsa_exception_fp_ieee_inexact 0
		.amdhsa_exception_int_div_zero 0
	.end_amdhsa_kernel
	.text
.Lfunc_end0:
	.size	fft_rtc_fwd_len1020_factors_2_17_2_3_5_wgs_204_tpt_68_halfLds_dp_ip_CI_sbrr_dirReg, .Lfunc_end0-fft_rtc_fwd_len1020_factors_2_17_2_3_5_wgs_204_tpt_68_halfLds_dp_ip_CI_sbrr_dirReg
                                        ; -- End function
	.section	.AMDGPU.csdata,"",@progbits
; Kernel info:
; codeLenInByte = 15976
; NumSgprs: 54
; NumVgprs: 233
; ScratchSize: 0
; MemoryBound: 1
; FloatMode: 240
; IeeeMode: 1
; LDSByteSize: 0 bytes/workgroup (compile time only)
; SGPRBlocks: 6
; VGPRBlocks: 29
; NumSGPRsForWavesPerEU: 54
; NumVGPRsForWavesPerEU: 233
; Occupancy: 6
; WaveLimiterHint : 1
; COMPUTE_PGM_RSRC2:SCRATCH_EN: 0
; COMPUTE_PGM_RSRC2:USER_SGPR: 2
; COMPUTE_PGM_RSRC2:TRAP_HANDLER: 0
; COMPUTE_PGM_RSRC2:TGID_X_EN: 1
; COMPUTE_PGM_RSRC2:TGID_Y_EN: 0
; COMPUTE_PGM_RSRC2:TGID_Z_EN: 0
; COMPUTE_PGM_RSRC2:TIDIG_COMP_CNT: 0
	.text
	.p2alignl 7, 3214868480
	.fill 96, 4, 3214868480
	.type	__hip_cuid_366cc8daf8163da5,@object ; @__hip_cuid_366cc8daf8163da5
	.section	.bss,"aw",@nobits
	.globl	__hip_cuid_366cc8daf8163da5
__hip_cuid_366cc8daf8163da5:
	.byte	0                               ; 0x0
	.size	__hip_cuid_366cc8daf8163da5, 1

	.ident	"AMD clang version 19.0.0git (https://github.com/RadeonOpenCompute/llvm-project roc-6.4.0 25133 c7fe45cf4b819c5991fe208aaa96edf142730f1d)"
	.section	".note.GNU-stack","",@progbits
	.addrsig
	.addrsig_sym __hip_cuid_366cc8daf8163da5
	.amdgpu_metadata
---
amdhsa.kernels:
  - .args:
      - .actual_access:  read_only
        .address_space:  global
        .offset:         0
        .size:           8
        .value_kind:     global_buffer
      - .offset:         8
        .size:           8
        .value_kind:     by_value
      - .actual_access:  read_only
        .address_space:  global
        .offset:         16
        .size:           8
        .value_kind:     global_buffer
      - .actual_access:  read_only
        .address_space:  global
        .offset:         24
        .size:           8
        .value_kind:     global_buffer
      - .offset:         32
        .size:           8
        .value_kind:     by_value
      - .actual_access:  read_only
        .address_space:  global
        .offset:         40
        .size:           8
        .value_kind:     global_buffer
      - .actual_access:  read_only
        .address_space:  global
        .offset:         48
        .size:           8
        .value_kind:     global_buffer
      - .offset:         56
        .size:           4
        .value_kind:     by_value
      - .actual_access:  read_only
        .address_space:  global
        .offset:         64
        .size:           8
        .value_kind:     global_buffer
      - .actual_access:  read_only
        .address_space:  global
        .offset:         72
        .size:           8
        .value_kind:     global_buffer
      - .address_space:  global
        .offset:         80
        .size:           8
        .value_kind:     global_buffer
    .group_segment_fixed_size: 0
    .kernarg_segment_align: 8
    .kernarg_segment_size: 88
    .language:       OpenCL C
    .language_version:
      - 2
      - 0
    .max_flat_workgroup_size: 204
    .name:           fft_rtc_fwd_len1020_factors_2_17_2_3_5_wgs_204_tpt_68_halfLds_dp_ip_CI_sbrr_dirReg
    .private_segment_fixed_size: 0
    .sgpr_count:     54
    .sgpr_spill_count: 0
    .symbol:         fft_rtc_fwd_len1020_factors_2_17_2_3_5_wgs_204_tpt_68_halfLds_dp_ip_CI_sbrr_dirReg.kd
    .uniform_work_group_size: 1
    .uses_dynamic_stack: false
    .vgpr_count:     233
    .vgpr_spill_count: 0
    .wavefront_size: 32
    .workgroup_processor_mode: 1
amdhsa.target:   amdgcn-amd-amdhsa--gfx1201
amdhsa.version:
  - 1
  - 2
...

	.end_amdgpu_metadata
